;; amdgpu-corpus repo=ROCm/Tensile kind=harvested arch=n/a opt=n/a

/******************************************/
/* Function Prefix                        */
/******************************************/



/******************************************/
/* Begin Kernel                           */
/******************************************/

// Component.Signature.SignatureDefault
.amdgcn_target "amdgcn-amd-amdhsa--gfx908"
.text
.protected Cijk_Ailk_Bjlk_I8II_BH_GB_MT256x256x32_MI32x32x8x1_SN_1LDSB0_APM1_AF0EM8_AF1EM1_AMAS3_ASE_ASAE01_ASCE01_ASEM1_BL1_DTLA0_DTLB0_DVO0_EPS1_FL0_GLVWA16_GLVWB16_GRVW16_GSU1_GSUASB_ISA908_IU1_K1_KLA_LBSPPA0_LBSPPB0_LPA0_LPB0_LDL1_LRVW4_LDW0_FMA_MDA2_MMFGLC_NTC0_NTD0_NEPBS0_NLCA1_NLCB1_ONLL1_OPLV0_PKn1_PAP0_PGR1_PLR1_SIA3_SS0_SU0_SUM0_SUS0_SPO0_SRVW0_SSO0_SVW4_SNLL0_TT4_128_TLDS0_UMLDSA0_UMLDSB0_USFGROn1_VAW1_VSn1_VW4_VWB4_WSGRA1_WSGRB1_WG64_4_1_WGM1
.globl Cijk_Ailk_Bjlk_I8II_BH_GB_MT256x256x32_MI32x32x8x1_SN_1LDSB0_APM1_AF0EM8_AF1EM1_AMAS3_ASE_ASAE01_ASCE01_ASEM1_BL1_DTLA0_DTLB0_DVO0_EPS1_FL0_GLVWA16_GLVWB16_GRVW16_GSU1_GSUASB_ISA908_IU1_K1_KLA_LBSPPA0_LBSPPB0_LPA0_LPB0_LDL1_LRVW4_LDW0_FMA_MDA2_MMFGLC_NTC0_NTD0_NEPBS0_NLCA1_NLCB1_ONLL1_OPLV0_PKn1_PAP0_PGR1_PLR1_SIA3_SS0_SU0_SUM0_SUS0_SPO0_SRVW0_SSO0_SVW4_SNLL0_TT4_128_TLDS0_UMLDSA0_UMLDSB0_USFGROn1_VAW1_VSn1_VW4_VWB4_WSGRA1_WSGRB1_WG64_4_1_WGM1
.p2align 8
.type Cijk_Ailk_Bjlk_I8II_BH_GB_MT256x256x32_MI32x32x8x1_SN_1LDSB0_APM1_AF0EM8_AF1EM1_AMAS3_ASE_ASAE01_ASCE01_ASEM1_BL1_DTLA0_DTLB0_DVO0_EPS1_FL0_GLVWA16_GLVWB16_GRVW16_GSU1_GSUASB_ISA908_IU1_K1_KLA_LBSPPA0_LBSPPB0_LPA0_LPB0_LDL1_LRVW4_LDW0_FMA_MDA2_MMFGLC_NTC0_NTD0_NEPBS0_NLCA1_NLCB1_ONLL1_OPLV0_PKn1_PAP0_PGR1_PLR1_SIA3_SS0_SU0_SUM0_SUS0_SPO0_SRVW0_SSO0_SVW4_SNLL0_TT4_128_TLDS0_UMLDSA0_UMLDSB0_USFGROn1_VAW1_VSn1_VW4_VWB4_WSGRA1_WSGRB1_WG64_4_1_WGM1,@function
.section .rodata,#alloc
.p2align 6
.amdhsa_kernel Cijk_Ailk_Bjlk_I8II_BH_GB_MT256x256x32_MI32x32x8x1_SN_1LDSB0_APM1_AF0EM8_AF1EM1_AMAS3_ASE_ASAE01_ASCE01_ASEM1_BL1_DTLA0_DTLB0_DVO0_EPS1_FL0_GLVWA16_GLVWB16_GRVW16_GSU1_GSUASB_ISA908_IU1_K1_KLA_LBSPPA0_LBSPPB0_LPA0_LPB0_LDL1_LRVW4_LDW0_FMA_MDA2_MMFGLC_NTC0_NTD0_NEPBS0_NLCA1_NLCB1_ONLL1_OPLV0_PKn1_PAP0_PGR1_PLR1_SIA3_SS0_SU0_SUM0_SUS0_SPO0_SRVW0_SSO0_SVW4_SNLL0_TT4_128_TLDS0_UMLDSA0_UMLDSB0_USFGROn1_VAW1_VSn1_VW4_VWB4_WSGRA1_WSGRB1_WG64_4_1_WGM1
  .amdhsa_user_sgpr_kernarg_segment_ptr 1
  .amdhsa_user_sgpr_count 2
  .amdhsa_next_free_vgpr 256 // vgprs
  .amdhsa_next_free_sgpr 72 // sgprs
  .amdhsa_group_segment_fixed_size 32768 // lds bytes
  .amdhsa_private_segment_fixed_size 0
  .amdhsa_system_sgpr_workgroup_id_x 1
  .amdhsa_system_sgpr_workgroup_id_y 1
  .amdhsa_system_sgpr_workgroup_id_z 1
  .amdhsa_system_vgpr_workitem_id 0
  .amdhsa_float_denorm_mode_32 3
  .amdhsa_float_denorm_mode_16_64 3
.end_amdhsa_kernel
.text

/******************************************/
/* Optimizations and Config:              */
/******************************************/
/* ThreadTile= 64 x 4 */
/* SubGroup= 4 x 64 */
/* VectorWidthA=4 */
/* VectorWidthB=4 */
/* GlobalLoadVectorWidthA=16, GlobalLoadVectorWidthB=16 */
/* DirectToLdsA=False */
/* DirectToLdsB=False */
/* UseSgprForGRO=False */
.amdgpu_metadata
---
amdhsa.version:
  - 1
  - 1
amdhsa.target: amdgcn-amd-amdhsa--gfx908
amdhsa.kernels:
  - .name: Cijk_Ailk_Bjlk_I8II_BH_GB_MT256x256x32_MI32x32x8x1_SN_1LDSB0_APM1_AF0EM8_AF1EM1_AMAS3_ASE_ASAE01_ASCE01_ASEM1_BL1_DTLA0_DTLB0_DVO0_EPS1_FL0_GLVWA16_GLVWB16_GRVW16_GSU1_GSUASB_ISA908_IU1_K1_KLA_LBSPPA0_LBSPPB0_LPA0_LPB0_LDL1_LRVW4_LDW0_FMA_MDA2_MMFGLC_NTC0_NTD0_NEPBS0_NLCA1_NLCB1_ONLL1_OPLV0_PKn1_PAP0_PGR1_PLR1_SIA3_SS0_SU0_SUM0_SUS0_SPO0_SRVW0_SSO0_SVW4_SNLL0_TT4_128_TLDS0_UMLDSA0_UMLDSB0_USFGROn1_VAW1_VSn1_VW4_VWB4_WSGRA1_WSGRB1_WG64_4_1_WGM1
    .symbol: 'Cijk_Ailk_Bjlk_I8II_BH_GB_MT256x256x32_MI32x32x8x1_SN_1LDSB0_APM1_AF0EM8_AF1EM1_AMAS3_ASE_ASAE01_ASCE01_ASEM1_BL1_DTLA0_DTLB0_DVO0_EPS1_FL0_GLVWA16_GLVWB16_GRVW16_GSU1_GSUASB_ISA908_IU1_K1_KLA_LBSPPA0_LBSPPB0_LPA0_LPB0_LDL1_LRVW4_LDW0_FMA_MDA2_MMFGLC_NTC0_NTD0_NEPBS0_NLCA1_NLCB1_ONLL1_OPLV0_PKn1_PAP0_PGR1_PLR1_SIA3_SS0_SU0_SUM0_SUS0_SPO0_SRVW0_SSO0_SVW4_SNLL0_TT4_128_TLDS0_UMLDSA0_UMLDSB0_USFGROn1_VAW1_VSn1_VW4_VWB4_WSGRA1_WSGRB1_WG64_4_1_WGM1.kd'
    .language:                   OpenCL C
    .language_version:
      - 2
      - 0
    .args:
      - .name:            Tensor2dSizeA
        .size:            8
        .offset:          0
        .value_kind:      by_value
        .value_type:      u64
      - .name:            Tensor2dSizeB
        .size:            8
        .offset:          8
        .value_kind:      by_value
        .value_type:      u64
      - .name:            AddressD
        .size:            8
        .offset:          16
        .value_kind:      by_value
        .value_type:      u64
      - .name:            AddressC
        .size:            8
        .offset:          24
        .value_kind:      by_value
        .value_type:      u64
      - .name:            AddressA
        .size:            8
        .offset:          32
        .value_kind:      by_value
        .value_type:      u64
      - .name:            AddressB
        .size:            8
        .offset:          40
        .value_kind:      by_value
        .value_type:      u64
      - .name:            OffsetD
        .size:            8
        .offset:          48
        .value_kind:      by_value
        .value_type:      u64
      - .name:            OffsetC
        .size:            8
        .offset:          56
        .value_kind:      by_value
        .value_type:      u64
      - .name:            OffsetA
        .size:            8
        .offset:          64
        .value_kind:      by_value
        .value_type:      u64
      - .name:            OffsetB
        .size:            8
        .offset:          72
        .value_kind:      by_value
        .value_type:      u64
      - .name:            Alpha
        .size:            4
        .offset:          80
        .value_kind:      by_value
        .value_type:      u32
      - .name:            Beta
        .size:            4
        .offset:          84
        .value_kind:      by_value
        .value_type:      u32
      - .name:            StridesD
        .size:            8
        .offset:          88
        .value_kind:      by_value
        .value_type:      u64
      - .name:            StridesC
        .size:            8
        .offset:          96
        .value_kind:      by_value
        .value_type:      u64
      - .name:            StridesA
        .size:            8
        .offset:          104
        .value_kind:      by_value
        .value_type:      u64
      - .name:            StridesB
        .size:            8
        .offset:          112
        .value_kind:      by_value
        .value_type:      u64
      - .name:            SizesFree
        .size:            12
        .offset:          120
        .value_kind:      by_value
        .value_type:      u96
      - .name:            SizesSum
        .size:            4
        .offset:          132
        .value_kind:      by_value
        .value_type:      u32
      - .name:            NumWorkGroups0
        .size:            4
        .offset:          136
        .value_kind:      by_value
        .value_type:      u32
      - .name:            NumWorkGroups1
        .size:            4
        .offset:          140
        .value_kind:      by_value
        .value_type:      u32
      - .name:            MagicNumberProblemNumGroupTiles0
        .size:            4
        .offset:          144
        .value_kind:      by_value
        .value_type:      u32
      - .name:            MagicShiftProblemNumGroupTiles0
        .size:            4
        .offset:          148
        .value_kind:      by_value
        .value_type:      u32
      - .name:            GridNumWorkGroups0
        .size:            4
        .offset:          152
        .value_kind:      by_value
        .value_type:      u32
    .group_segment_fixed_size:   32768
    .kernarg_segment_align:      8
    .kernarg_segment_size:       160
    .max_flat_workgroup_size:    256
    .private_segment_fixed_size: 0
    .sgpr_count:                 72
    .sgpr_spill_count:           0
    .vgpr_count:                 256
    .vgpr_spill_count:           0
    .wavefront_size:             64
...
.end_amdgpu_metadata
Cijk_Ailk_Bjlk_I8II_BH_GB_MT256x256x32_MI32x32x8x1_SN_1LDSB0_APM1_AF0EM8_AF1EM1_AMAS3_ASE_ASAE01_ASCE01_ASEM1_BL1_DTLA0_DTLB0_DVO0_EPS1_FL0_GLVWA16_GLVWB16_GRVW16_GSU1_GSUASB_ISA908_IU1_K1_KLA_LBSPPA0_LBSPPB0_LPA0_LPB0_LDL1_LRVW4_LDW0_FMA_MDA2_MMFGLC_NTC0_NTD0_NEPBS0_NLCA1_NLCB1_ONLL1_OPLV0_PKn1_PAP0_PGR1_PLR1_SIA3_SS0_SU0_SUM0_SUS0_SPO0_SRVW0_SSO0_SVW4_SNLL0_TT4_128_TLDS0_UMLDSA0_UMLDSB0_USFGROn1_VAW1_VSn1_VW4_VWB4_WSGRA1_WSGRB1_WG64_4_1_WGM1:

/******************************************/
/* Asm syntax workarounds                 */
/******************************************/
.macro _v_add_co_u32 dst:req, cc:req, src0:req, src1:req, dpp=
   v_add_co_u32 \dst, \cc, \src0, \src1 \dpp
.endm

.macro _v_add_u32 dst:req, src0:req, src1:req, dpp=
   v_add_u32 \dst, \src0, \src1 \dpp
.endm

.macro _v_add_i32 dst:req, src0:req, src1:req, dpp=
   v_add_i32 \dst, \src0, \src1 \dpp
.endm

.macro _v_addc_co_u32 dst:req, ccOut:req, src0:req, ccIn:req, src1:req, dpp=
   v_addc_co_u32 \dst, \ccOut, \src0, \ccIn, \src1 \dpp
.endm

.macro _v_sub_co_u32 dst:req, cc:req, src0:req, src1:req, dpp=
   v_sub_co_u32 \dst, \cc, \src0, \src1 \dpp
.endm

.macro _v_sub_u32 dst:req, src0:req, src1:req, dpp=
   v_sub_u32 \dst, \src0, \src1 \dpp
.endm

.macro _v_sub_i32 dst:req, src0:req, src1:req, dpp=
   v_sub_i32 \dst, \src0, \src1 \dpp
.endm

.macro _v_add_lshl_u32 dst:req, src0:req, src1:req, shiftCnt:req
    v_add_lshl_u32 \dst, \src0, \src1, \shiftCnt
.endm

.macro _v_lshl_add_u32 dst:req, src0:req, src1:req, shiftCnt:req
    v_lshl_add_u32 \dst, \src0, \src1, \shiftCnt
.endm

.macro _v_lshl_or_b32 dst:req, src0:req, shiftCnt:req, src1:req
    v_lshl_or_b32 \dst, \src0, \shiftCnt, \src1
.endm

.macro _v_dot2acc_f32_f16 dst, src0, src1
v_dot2c_f32_f16 \dst, \src0, \src1
.endm

.macro _v_cmpx_lt_i16 dst, src0, src1=
   v_cmpx_lt_i16 \dst, \src0, \src1 
.endm

.macro _v_cmpx_lt_i32 dst, src0, src1=
   v_cmpx_lt_i32 \dst, \src0, \src1 
.endm

.macro _v_cmpx_lt_i64 dst, src0, src1=
   v_cmpx_lt_i64 \dst, \src0, \src1 
.endm

.macro _v_cmpx_lt_u16 dst, src0, src1=
   v_cmpx_lt_u16 \dst, \src0, \src1 
.endm

.macro _v_cmpx_lt_u32 dst, src0, src1=
   v_cmpx_lt_u32 \dst, \src0, \src1 
.endm

.macro _v_cmpx_lt_u64 dst, src0, src1=
   v_cmpx_lt_u64 \dst, \src0, \src1 
.endm

.macro _v_cmpx_eq_i16 dst, src0, src1=
   v_cmpx_eq_i16 \dst, \src0, \src1 
.endm

.macro _v_cmpx_eq_i32 dst, src0, src1=
   v_cmpx_eq_i32 \dst, \src0, \src1 
.endm

.macro _v_cmpx_eq_i64 dst, src0, src1=
   v_cmpx_eq_i64 \dst, \src0, \src1 
.endm

.macro _v_cmpx_eq_u16 dst, src0, src1=
   v_cmpx_eq_u16 \dst, \src0, \src1 
.endm

.macro _v_cmpx_eq_u32 dst, src0, src1=
   v_cmpx_eq_u32 \dst, \src0, \src1 
.endm

.macro _v_cmpx_eq_u64 dst, src0, src1=
   v_cmpx_eq_u64 \dst, \src0, \src1 
.endm

.macro _v_cmpx_le_i16 dst, src0, src1=
   v_cmpx_le_i16 \dst, \src0, \src1 
.endm

.macro _v_cmpx_le_i32 dst, src0, src1=
   v_cmpx_le_i32 \dst, \src0, \src1 
.endm

.macro _v_cmpx_le_i64 dst, src0, src1=
   v_cmpx_le_i64 \dst, \src0, \src1 
.endm

.macro _v_cmpx_le_u16 dst, src0, src1=
   v_cmpx_le_u16 \dst, \src0, \src1 
.endm

.macro _v_cmpx_le_u32 dst, src0, src1=
   v_cmpx_le_u32 \dst, \src0, \src1 
.endm

.macro _v_cmpx_le_u64 dst, src0, src1=
   v_cmpx_le_u64 \dst, \src0, \src1 
.endm

.macro _v_cmpx_gt_i16 dst, src0, src1=
   v_cmpx_gt_i16 \dst, \src0, \src1 
.endm

.macro _v_cmpx_gt_i32 dst, src0, src1=
   v_cmpx_gt_i32 \dst, \src0, \src1 
.endm

.macro _v_cmpx_gt_i64 dst, src0, src1=
   v_cmpx_gt_i64 \dst, \src0, \src1 
.endm

.macro _v_cmpx_gt_u16 dst, src0, src1=
   v_cmpx_gt_u16 \dst, \src0, \src1 
.endm

.macro _v_cmpx_gt_u32 dst, src0, src1=
   v_cmpx_gt_u32 \dst, \src0, \src1 
.endm

.macro _v_cmpx_gt_u64 dst, src0, src1=
   v_cmpx_gt_u64 \dst, \src0, \src1 
.endm

.macro _v_cmpx_ne_i16 dst, src0, src1=
   v_cmpx_ne_i16 \dst, \src0, \src1 
.endm

.macro _v_cmpx_ne_i32 dst, src0, src1=
   v_cmpx_ne_i32 \dst, \src0, \src1 
.endm

.macro _v_cmpx_ne_i64 dst, src0, src1=
   v_cmpx_ne_i64 \dst, \src0, \src1 
.endm

.macro _v_cmpx_ne_u16 dst, src0, src1=
   v_cmpx_ne_u16 \dst, \src0, \src1 
.endm

.macro _v_cmpx_ne_u32 dst, src0, src1=
   v_cmpx_ne_u32 \dst, \src0, \src1 
.endm

.macro _v_cmpx_ne_u64 dst, src0, src1=
   v_cmpx_ne_u64 \dst, \src0, \src1 
.endm

.macro _v_cmpx_lg_i16 dst, src0, src1=
   v_cmpx_lg_i16 \dst, \src0, \src1 
.endm

.macro _v_cmpx_lg_i32 dst, src0, src1=
   v_cmpx_lg_i32 \dst, \src0, \src1 
.endm

.macro _v_cmpx_lg_i64 dst, src0, src1=
   v_cmpx_lg_i64 \dst, \src0, \src1 
.endm

.macro _v_cmpx_lg_u16 dst, src0, src1=
   v_cmpx_lg_u16 \dst, \src0, \src1 
.endm

.macro _v_cmpx_lg_u32 dst, src0, src1=
   v_cmpx_lg_u32 \dst, \src0, \src1 
.endm

.macro _v_cmpx_lg_u64 dst, src0, src1=
   v_cmpx_lg_u64 \dst, \src0, \src1 
.endm

.macro _v_cmpx_ge_i16 dst, src0, src1=
   v_cmpx_ge_i16 \dst, \src0, \src1 
.endm

.macro _v_cmpx_ge_i32 dst, src0, src1=
   v_cmpx_ge_i32 \dst, \src0, \src1 
.endm

.macro _v_cmpx_ge_i64 dst, src0, src1=
   v_cmpx_ge_i64 \dst, \src0, \src1 
.endm

.macro _v_cmpx_ge_u16 dst, src0, src1=
   v_cmpx_ge_u16 \dst, \src0, \src1 
.endm

.macro _v_cmpx_ge_u32 dst, src0, src1=
   v_cmpx_ge_u32 \dst, \src0, \src1 
.endm

.macro _v_cmpx_ge_u64 dst, src0, src1=
   v_cmpx_ge_u64 \dst, \src0, \src1 
.endm

.macro _v_cmpx_o_i16 dst, src0, src1=
   v_cmpx_o_i16 \dst, \src0, \src1 
.endm

.macro _v_cmpx_o_i32 dst, src0, src1=
   v_cmpx_o_i32 \dst, \src0, \src1 
.endm

.macro _v_cmpx_o_i64 dst, src0, src1=
   v_cmpx_o_i64 \dst, \src0, \src1 
.endm

.macro _v_cmpx_o_u16 dst, src0, src1=
   v_cmpx_o_u16 \dst, \src0, \src1 
.endm

.macro _v_cmpx_o_u32 dst, src0, src1=
   v_cmpx_o_u32 \dst, \src0, \src1 
.endm

.macro _v_cmpx_o_u64 dst, src0, src1=
   v_cmpx_o_u64 \dst, \src0, \src1 
.endm

.macro _v_cmpx_u_i16 dst, src0, src1=
   v_cmpx_u_i16 \dst, \src0, \src1 
.endm

.macro _v_cmpx_u_i32 dst, src0, src1=
   v_cmpx_u_i32 \dst, \src0, \src1 
.endm

.macro _v_cmpx_u_i64 dst, src0, src1=
   v_cmpx_u_i64 \dst, \src0, \src1 
.endm

.macro _v_cmpx_u_u16 dst, src0, src1=
   v_cmpx_u_u16 \dst, \src0, \src1 
.endm

.macro _v_cmpx_u_u32 dst, src0, src1=
   v_cmpx_u_u32 \dst, \src0, \src1 
.endm

.macro _v_cmpx_u_u64 dst, src0, src1=
   v_cmpx_u_u64 \dst, \src0, \src1 
.endm
.macro _v_mac_f32 c:req, a:req, b:req
    v_fmac_f32 \c, \a, \b
.endmacro

/* scale global load macros */
.macro _s_load_b32 dst base offset
    s_load_dword \dst \base \offset
.endm

.macro _s_load_b64 dst base offset
    s_load_dwordx2 \dst \base \offset
.endm

.macro _s_load_b128 dst base offset
    s_load_dwordx4 \dst \base \offset
.endm

.macro _s_load_b256 dst base offset
    s_load_dwordx8 \dst \base \offset
.endm

.macro _s_load_b512 dst base offset
    s_load_dwordx16 \dst \base \offset
.endm


/* ds operation macros */
.macro _ds_load_u8 dst src offset
    ds_read_u8 \dst \src \offset
.endm

.macro _ds_load_u8_d16_hi dst src offset
    ds_read_u8_d16_hi \dst \src \offset
.endm

.macro _ds_load_u16 dst src offset
    ds_read_u16 \dst \src \offset
.endm

.macro _ds_load_u16_d16_hi dst src offset
    ds_read_u16_d16_hi \dst \src \offset
.endm

.macro _ds_load_b32 dst src offset
    ds_read_b32 \dst \src \offset
.endm

.macro _ds_load_b64 dst src offset
    ds_read_b64 \dst \src \offset
.endm

.macro _ds_load_b128 dst src offset
    ds_read_b128 \dst \src \offset
.endm

.macro _ds_store_b8 dst src offset
    ds_write_b8 \dst \src \offset
.endm

.macro _ds_store_b8_d16_hi dst src offset
    ds_write_b8_d16_hi \dst \src \offset
.endm

.macro _ds_store_b16 dst src offset
    ds_write_b16 \dst \src \offset
.endm

.macro _ds_store_b16_d16_hi dst src offset
    ds_write_b16_d16_hi \dst \src \offset
.endm

.macro _ds_store_b32 dst src offset
    ds_write_b32 \dst \src \offset
.endm

.macro _ds_store_b64 dst src offset
    ds_write_b64 \dst \src \offset
.endm

.macro _ds_store_b128 dst src offset
    ds_write_b128 \dst \src \offset
.endm

.macro _ds_load2_b32 dst src offset1 offset2
    ds_read2_b32 \dst \src \offset1 \offset2
.endm

.macro _ds_load2_b64 dst src offset1 offset2
    ds_read2_b64 \dst \src \offset1 \offset2
.endm

.macro _ds_store2_b32 dst src offset1 offset2
    ds_write2_b32 \dst \src \offset1 \offset2
.endm

.macro _ds_store2_b64 dst src offset1 offset2
    ds_write2_b64 \dst \src \offset1 \offset2
.endm


/* buffer memory operation macros */
.macro _buffer_load_b32 dst voffset base soffset offen ioffset md0 md1 md2
    buffer_load_dword \dst \voffset \base \soffset \offen \ioffset \md0 \md1 \md2
.endm

.macro _buffer_load_b64 dst voffset base soffset offen ioffset md0 md1 md2
    buffer_load_dwordx2 \dst \voffset \base \soffset \offen \ioffset \md0 \md1 \md2
.endm

.macro _buffer_load_b96 dst voffset base soffset offen ioffset md0 md1 md2
    buffer_load_dwordx3 \dst \voffset \base \soffset \offen \ioffset \md0 \md1 \md2
.endm

.macro _buffer_load_b128 dst voffset base soffset offen ioffset md0 md1 md2
    buffer_load_dwordx4 \dst \voffset \base \soffset \offen \ioffset \md0 \md1 \md2
.endm

.macro _buffer_load_d16_b16 dst voffset base soffset offen ioffset md0 md1 md2
    buffer_load_short_d16 \dst \voffset \base \soffset \offen \ioffset \md0 \md1 \md2
.endm

.macro _buffer_load_d16_hi_b16 dst voffset base soffset offen ioffset md0 md1 md2
    buffer_load_short_d16_hi \dst \voffset \base \soffset \offen \ioffset \md0 \md1 \md2
.endm

.macro _buffer_load_d16_u8 dst voffset base soffset offen ioffset md0 md1 md2
    buffer_load_ubyte_d16 \dst \voffset \base \soffset \offen \ioffset \md0 \md1 \md2
.endm

.macro _buffer_load_d16_hi_u8 dst voffset base soffset offen ioffset md0 md1 md2
    buffer_load_ubyte_d16_hi \dst \voffset \base \soffset \offen \ioffset \md0 \md1 \md2
.endm

.macro _buffer_load_u16 dst voffset base soffset offen ioffset md0 md1 md2
    buffer_load_ushort \dst \voffset \base \soffset \offen \ioffset \md0 \md1 \md2
.endm

.macro _buffer_load_b32_dtl voffset base soffset offen ioffset md0 md1 md2
    buffer_load_dword \voffset \base \soffset \offen \ioffset \md0 \md1 \md2
.endm

.macro _buffer_load_b64_dtl voffset base soffset offen ioffset md0 md1 md2
    buffer_load_dwordx2 \voffset \base \soffset \offen \ioffset \md0 \md1 \md2
.endm

.macro _buffer_load_b128_dtl voffset base soffset offen ioffset md0 md1 md2
    buffer_load_dwordx4 \voffset \base \soffset \offen \ioffset \md0 \md1 \md2
.endm

.macro _buffer_load_u16_dtl voffset base soffset offen ioffset md0 md1 md2
    buffer_load_ushort \voffset \base \soffset \offen \ioffset \md0 \md1 \md2
.endm

.macro _buffer_store_b32 src voffset base soffset offen ioffset md0 md1 md2
    buffer_store_dword \src \voffset \base \soffset \offen \ioffset \md0 \md1 \md2
.endm

.macro _buffer_store_b64 src voffset base soffset offen ioffset md0 md1 md2
    buffer_store_dwordx2 \src \voffset \base \soffset \offen \ioffset \md0 \md1 \md2
.endm

.macro _buffer_store_b96 src voffset base soffset offen ioffset md0 md1 md2
    buffer_store_dwordx3 \src \voffset \base \soffset \offen \ioffset \md0 \md1 \md2
.endm

.macro _buffer_store_b128 src voffset base soffset offen ioffset md0 md1 md2
    buffer_store_dwordx4 \src \voffset \base \soffset \offen \ioffset \md0 \md1 \md2
.endm

.macro _buffer_store_b16 src voffset base soffset offen ioffset md0 md1 md2
    buffer_store_short \src \voffset \base \soffset \offen \ioffset \md0 \md1 \md2
.endm

.macro _buffer_store_d16_hi_b16 src voffset base soffset offen ioffset md0 md1 md2
    buffer_store_short_d16_hi \src \voffset \base \soffset \offen \ioffset \md0 \md1 \md2
.endm

.macro _buffer_store_b8 src voffset base soffset offen ioffset md0 md1 md2
    buffer_store_byte \src \voffset \base \soffset \offen \ioffset \md0 \md1 \md2
.endm

.macro _buffer_store_d16_hi_b8 src voffset base soffset offen ioffset md0 md1 md2
    buffer_store_byte_d16_hi \src \voffset \base \soffset \offen \ioffset \md0 \md1 \md2
.endm

.macro _buffer_atomic_cmpswap_b32 dst voffset base soffset offen ioffset md0 md1 md2
    buffer_atomic_cmpswap \dst \voffset \base \soffset \offen \ioffset \md0 \md1 \md2
.endm

.macro _buffer_atomic_cmpswap_b64 dst voffset base soffset offen ioffset md0 md1 md2
    buffer_atomic_cmpswap_x2 \dst \voffset \base \soffset \offen \ioffset \md0 \md1 \md2
.endm


/* buffer memory operation macros */
.macro _global_load_b32 dst base src ioffset md0 md1 md2
    global_load_dword \dst \base \src \ioffset \md0 \md1 \md2
.endm

.macro _global_load_b64 dst base src ioffset md0 md1 md2
    global_load_dwordx2 \dst \base \src \ioffset \md0 \md1 \md2
.endm

.macro _global_load_b96 dst base src ioffset md0 md1 md2
    global_load_dwordx3 \dst \base \src \ioffset \md0 \md1 \md2
.endm

.macro _global_load_b128 dst base src ioffset md0 md1 md2
    global_load_dwordx4 \dst \base \src \ioffset \md0 \md1 \md2
.endm

.macro _global_load_d16_b16 dst base src ioffset md0 md1 md2
    global_load_short_d16 \dst \base \src \ioffset \md0 \md1 \md2
.endm

.macro _global_load_d16_hi_b16 dst base src ioffset md0 md1 md2
    global_load_short_d16_hi \dst \base \src \ioffset \md0 \md1 \md2
.endm

.macro _global_load_d16_u8 dst base src ioffset md0 md1 md2
    global_load_ubyte_d16 \dst \base \src \ioffset \md0 \md1 \md2
.endm

.macro _global_load_d16_hi_u8 dst base src ioffset md0 md1 md2
    global_load_ubyte_d16_hi \dst \base \src \ioffset \md0 \md1 \md2
.endm

.macro _global_load_u16 dst base src ioffset md0 md1 md2
    global_load_ushort \dst \base \src \ioffset \md0 \md1 \md2
.endm

.macro _global_store_b32 base src src2 md0 md1 md2
    global_store_dword \base \src \src2 \md0 \md1 \md2
.endm

.macro _global_store_b64 base src src2 md0 md1 md2
    global_store_dwordx2 \base \src \src2 \md0 \md1 \md2
.endm

.macro _global_store_b96 base src src2 md0 md1 md2
    global_store_dwordx3 \base \src \src2 \md0 \md1 \md2
.endm

.macro _global_store_b128 base src src2 md0 md1 md2
    global_store_dwordx4 \base \src \src2 \md0 \md1 \md2
.endm

.macro _global_store_d16_b16 base src src2 md0 md1 md2
    global_store_short \base \src \src2 \md0 \md1 \md2
.endm

.macro _global_store_d16_hi_b16 base src src2 md0 md1 md2
    global_store_short_d16_hi \base \src \src2 \md0 \md1 \md2
.endm

.macro _global_store_d16_u8 base src src2 md0 md1 md2
    global_store_ubyte_d16 \base \src \src2 \md0 \md1 \md2
.endm

.macro _global_store_d16_hi_u8 base src src2 md0 md1 md2
    global_store_ubyte_d16_hi \base \src \src2 \md0 \md1 \md2
.endm

.macro _global_store_u16 base src src2 md0 md1 md2
    global_store_ushort \base \src \src2 \md0 \md1 \md2
.endm

.macro _global_atomic_cmpswap_b32 tmp base data src ioffset md
    global_atomic_cmpswap \tmp \base \data \src \ioffset \md
.endm

.macro _global_atomic_cmpswap_b64 tmp base data src ioffset md
    global_atomic_cmpswap_x2 \tmp \base \data \src \ioffset \md
.endm


/******************************************/
/* Magic div and mod functions            */
/******************************************/
.macro V_MAGIC_DIV dstIdx:req, dividend:req, magicNumber:req, magicShift:req, magicA:req
    v_mul_hi_u32 v[\dstIdx+1], \dividend, \magicNumber
    v_mul_lo_u32 v[\dstIdx+0], \dividend, \magicA
    _v_add_u32 v[\dstIdx+0], v[\dstIdx+0], v[\dstIdx+1]
    v_lshrrev_b32 v[\dstIdx+0], \magicShift, v[\dstIdx+0]
.endm

/******************************************/
/* VGPR Assignments                       */
/******************************************/
/* ValuC range: [0-0), serializedStore enabled */
.set vgprValuC, 0
/* ValuA/B   Xn=PLR buffer idx,  In=InnerUnroll idx */
.set vgprValuA_X0_I0, 0
.set vgprValuA_X1_I0, 4
.set vgprG2LA, 22
.set vgprValuB_X0_I0, 8
.set vgprValuB_X1_I0, 12
.set vgprG2LB, 30
.set vgprLocalWriteAddrA, 16
.set vgprLocalWriteAddrB, 17
.set vgprGlobalReadOffsetA, 18
.set vgprGlobalReadOffsetB, 20
.set vgprLocalReadAddrA, 38
.set vgprLocalReadAddrB, 39
.set vgprSerial, 40
/* Num VGPR=256 */
/* Num AccVGPR=256 */

/******************************************/
/* SGPR Assignments                       */
/******************************************/
.set sgprKernArgAddress, 0 // (2)
.set sgprWorkGroup0, 2 // (1)
.set sgprWorkGroup1, 3 // (1)
.set sgprWorkGroup2, 4 // (1)
.set sgprLoopCounterL, 5 // (1)
.set sgprOrigLoopCounter, 6 // (1)
.set sgprSrdA, 8 // (4)
.set sgprSrdB, 12 // (4)
.set sgprSrdD, 16 // (4)
.set sgprSrdC, 20 // (4)
.set sgprTensor2dSizeA, 24 // (2)
.set sgprTensor2dSizeB, 26 // (2)
.set sgprAddressD, 28 // (2)
.set sgprAddressC, 30 // (2)
.set sgprAddressA, 32 // (2)
.set sgprAddressB, 34 // (2)
.set sgprOffsetD, 36 // (2)
.set sgprOffsetC, 38 // (2)
.set sgprOffsetA, 40 // (2)
.set sgprOffsetB, 42 // (2)
.set sgprAlpha, 44 // (1)
.set sgprBeta, 45 // (1)
.set sgprStridesD, 46 // (2)
.set sgprStridesC, 48 // (2)
.set sgprStridesA, 50 // (2)
.set sgprStridesB, 52 // (2)
.set sgprSizesFree, 54 // (3)
.set sgprSizesSum, 57 // (1)
.set sgprNumWorkGroups0, 58 // (1)
.set sgprNumWorkGroups1, 59 // (1)
.set sgprMagicNumberProblemNumGroupTiles0, 60 // (1)
.set sgprMagicShiftProblemNumGroupTiles0, 61 // (1)
.set sgprGridNumWorkGroups0, 62 // (1)
.set sgprShadowLimitA, 36 // (2)
.set sgprShadowLimitB, 38 // (2)
.set sgprSerialWorkGroupIter, 7 // (1)
.set sgprGlobalReadIncsA, 40 // (1)
.set sgprGlobalReadIncsB, 41 // (1)
/* max SGPR=72 */

/* Size Assignments */
.set sgprSizeI, sgprSizesFree+0
.set sgprSizeJ, sgprSizesFree+1
.set sgprSizeK, sgprSizesFree+2
.set sgprSizeL, sgprSizesSum+0

/* Stride Assignments */
.set constStrideD0I, 1
.set sgprStrideD1J, sgprStridesD+0
.set sgprStrideDK, sgprStridesD+1
.set constStrideC0I, 1
.set sgprStrideC1J, sgprStridesC+0
.set sgprStrideCK, sgprStridesC+1
.set constStrideA0I, 1
.set sgprStrideAL, sgprStridesA+0
.set sgprStrideAK, sgprStridesA+1
.set constStrideB1J, 1
.set sgprStrideBL, sgprStridesB+0
.set sgprStrideBK, sgprStridesB+1

.set MT0, 256
.set MT1, 256
.set DepthU, 32
.set GSU, 1
.set BpeA, 1
.set BpeALog2, 0
.set BpeB, 1
.set BpeBLog2, 0
/* Number of elements to shift-left SRD */
.set SrdShiftLeftA, 16
.set SrdShiftLeftB, 16
/* 2GB limit - set offsets to -1 to exceed this and clamp */
.set BufferLimitA, 0xffffffff
.set BufferLimitB, 0xffffffff
.set BufferOOB, 0xfffff000

/******************************************/
/* Bits 127:96 of SRD.                    */
/* hex: 0x00020000                        */
/* dst_sel_x (3b): 0                      */
/* dst_sel_y (3b): 0                      */
/* dst_sel_z (3b): 0                      */
/* dst_sel_w (3b): 0                      */
/* num_format (3b): 0                     */
/* data_format (4b): 4                    */
/* user_vm_enable (1b): 0                 */
/* user_vm_mode (1b): 0                   */
/* index_stride (2b): 0                   */
/* add_tid_enable (1b): 0                 */
/* _unusedA (3b): 0                       */
/* nv (1b): 0                             */
/* _unusedB (2b): 0                       */
/* type (2b): 0                           */
/******************************************/
.set Srd127_96, 0x00020000

/* Global Offset A */
.macro GLOBAL_OFFSET_A vgprAddr:req vgprOffset0I:req vgprOffsetL:req vgprTmp:req
v_mul_lo_u32 v[\vgprTmp+0], s[sgprStrideAL], v[\vgprOffsetL] // mul d1 lower
_v_add_co_u32 v[\vgprAddr+0], vcc, v[\vgprOffset0I], v[\vgprTmp+0] // accumulate K lower
_v_add_u32 v[\vgprAddr+0], 0x10, v[\vgprAddr+0]    // add prepad for pointer shift
                                                   // offset *= bytes/element (multiplier is 1, do nothing)
.endm

/* Global Offset B */
.macro GLOBAL_OFFSET_B vgprAddr:req vgprOffset1J:req vgprOffsetL:req vgprTmp:req
v_mul_lo_u32 v[\vgprTmp+0], s[sgprStrideBL], v[\vgprOffsetL] // mul d1 lower
_v_add_co_u32 v[\vgprAddr+0], vcc, v[\vgprOffset1J], v[\vgprTmp+0] // accumulate K lower
_v_add_u32 v[\vgprAddr+0], 0x10, v[\vgprAddr+0]    // add prepad for pointer shift
                                                   // offset *= bytes/element (multiplier is 1, do nothing)
.endm

/******************************************/
/* Dynamic Scalar Divide: vQuotient=vDividend/vDivisor; vRemainder=vDividend%vDivisor; */
/******************************************/
.macro DYNAMIC_VECTOR_DIVIDE vQuotient vRemainder vDividend vDivisor vTmp0 vTmp1 sTmp
v_cvt_f32_u32 v[\vQuotient], v[\vDivisor]          // 
v_rcp_f32 v[\vQuotient], v[\vQuotient]             // 
v_mul_f32 v[\vQuotient], 0x4f800000, v[\vQuotient] // 
v_cvt_u32_f32 v[\vQuotient], v[\vQuotient]         // 
v_mul_lo_u32 v[\vRemainder], v[\vDivisor], v[\vQuotient] // 
v_mul_hi_u32 v[\vTmp0], v[\vDivisor], v[\vQuotient] // 
_v_sub_co_u32 v[\vTmp1], vcc, 0x0, v[\vRemainder]  // 
v_cmp_ne_i32 s[\sTmp:\sTmp+1], 0x0, v[\vTmp0]      // 
v_cndmask_b32 v[\vRemainder], v[\vTmp1], v[\vRemainder], s[\sTmp:\sTmp+1] // 
v_mul_hi_u32 v[\vRemainder], v[\vRemainder], v[\vQuotient] // 
_v_sub_co_u32 v[\vTmp0], vcc, v[\vQuotient], v[\vRemainder] // 
_v_add_co_u32 v[\vQuotient], vcc, v[\vQuotient], v[\vRemainder] // 
v_cndmask_b32 v[\vQuotient], v[\vQuotient], v[\vTmp0], s[\sTmp:\sTmp+1] // 
v_mul_hi_u32 v[\vQuotient], v[\vQuotient], v[\vDividend] // 
v_mul_lo_u32 v[\vRemainder], v[\vQuotient], v[\vDivisor] // 
_v_sub_co_u32 v[\vTmp0], vcc, v[\vDividend], v[\vRemainder] // 
v_cmp_ge_u32 s[\sTmp:\sTmp+1], v[\vDividend], v[\vRemainder] // 
_v_add_co_u32 v[\vRemainder], vcc, 0x1, v[\vQuotient] // 
_v_add_co_u32 v[\vTmp1], vcc, -1, v[\vQuotient]    // 
v_cmp_le_u32 vcc, v[\vDivisor], v[\vTmp0]          // 
s_and_b64 vcc, s[\sTmp:\sTmp+1], vcc               // 
v_cndmask_b32 v[\vQuotient], v[\vQuotient], v[\vRemainder], vcc // 
v_cndmask_b32 v[\vQuotient], v[\vTmp1], v[\vQuotient], s[\sTmp:\sTmp+1] // 
v_cmp_ne_i32 vcc, 0x0, v[\vDivisor]                // 
v_cndmask_b32 v[\vQuotient], -1, v[\vQuotient], vcc // final result
v_mul_lo_u32 v[\vRemainder], v[\vQuotient], v[\vDivisor] // 
_v_sub_co_u32 v[\vRemainder], vcc, v[\vDividend], v[\vRemainder] // final result
.endm


	;; [unrolled: 1-line block ×3, first 2 shown]
/******************************************/
/* Allocate Resources                     */
/******************************************/

Cijk_Ailk_Bjlk_I8II_BH_GB_MT256x256x32_MI32x32x8x1_SN_1LDSB0_APM1_AF0EM8_AF1EM1_AMAS3_ASE_ASAE01_ASCE01_ASEM1_BL1_DTLA0_DTLB0_DVO0_EPS1_FL0_GLVWA16_GLVWB16_GRVW16_GSU1_GSUASB_ISA908_IU1_K1_KLA_LBSPPA0_LBSPPB0_LPA0_LPB0_LDL1_LRVW4_LDW0_FMA_MDA2_MMFGLC_NTC0_NTD0_NEPBS0_NLCA1_NLCB1_ONLL1_OPLV0_PKn1_PAP0_PGR1_PLR1_SIA3_SS0_SU0_SUM0_SUS0_SPO0_SRVW0_SSO0_SVW4_SNLL0_TT4_128_TLDS0_UMLDSA0_UMLDSB0_USFGROn1_VAW1_VSn1_VW4_VWB4_WSGRA1_WSGRB1_WG64_4_1_WGM1_preloaded: // Kernel start when preloading

/* Load Kernel Args */
_s_load_b512 s[24:39], s[sgprKernArgAddress:sgprKernArgAddress+1], 0x0 // 
_s_load_b512 s[40:55], s[sgprKernArgAddress:sgprKernArgAddress+1], 0x40 // 
_s_load_b128 s[56:59], s[sgprKernArgAddress:sgprKernArgAddress+1], 0x80 // 
_s_load_b64 s[60:61], s[sgprKernArgAddress:sgprKernArgAddress+1], 0x90 // 
_s_load_b32 s62, s[sgprKernArgAddress:sgprKernArgAddress+1], 0x98 // 
s_mov_b32 m0, 0x8000                               // LDS clamp at 32768 bytes
v_mov_b32 v[vgprSerial], v0                        // thread serial id

/******************************************/
/* Local Read Addresses                   */
/******************************************/


/* local read addresses: tile assignments a/b */

/*lr0I*/
v_and_b32 v1, 63, v[vgprSerial]                    // 0. thread id in wave: wtid = tid % wavelength(64)
v_and_b32 v0, 31, v1                               // 1. N offset: nIdx = wtid % MI_N(32)
                                                   // 1. N offset: nOffset = nIdx * nStride(1) (multiplier is 1, do nothing)
                                                   // 2. block offset: bnIdx = bnIdx % num1DBlocks(1) is 0. do nothing
v_lshlrev_b32 v0, 0x2, v0                          // 4. apply VectorWidth: bnOffset = bnOffset * vw(4)
v_lshrrev_b32 v1, 5, v1                            // 5. K offset: kIdx = wtid / (MIN(32) * MIBB(1))
v_lshlrev_b32 v1, 0xa, v1                          // 5. K offset: lrKOffset = kIdx * mStride(1024)
_v_add_u32 v0, v1, v0                              // 6. offset in wave: lrOffset = bnOffset + lrKOffset
v_lshrrev_b32 v2, 6, v[vgprSerial]                 // 7. wave offset in N dimen: wtid = tid / dividedForWaveId(64)
v_and_b32 v1, 1, v2                                // 7. wave offset in M dimen: wtid0 = wtid / num1DWaves(2)
v_lshlrev_b32 v1, 0x7, v1                          // 7. wave offset in M dimen: wOffset = wtid0 * W0Stride(128)
_v_add_u32 v0, v1, v0                              // 8. final local read offset: flrOffset = lrOffset + WOffset
/*lr1J*/
v_and_b32 v2, 63, v[vgprSerial]                    // 0. thread id in wave: wtid = tid % wavelength(64)
v_and_b32 v1, 31, v2                               // 1. N offset: nIdx = wtid % MI_N(32)
                                                   // 1. N offset: nOffset = nIdx * nStride(1) (multiplier is 1, do nothing)
                                                   // 2. block offset: bnIdx = bnIdx % num1DBlocks(1) is 0. do nothing
v_lshlrev_b32 v1, 0x2, v1                          // 4. apply VectorWidth: bnOffset = bnOffset * vw(4)
v_lshrrev_b32 v2, 5, v2                            // 5. K offset: kIdx = wtid / (MIN(32) * MIBB(1))
v_lshlrev_b32 v2, 0xa, v2                          // 5. K offset: lrKOffset = kIdx * mStride(1024)
_v_add_u32 v1, v2, v1                              // 6. offset in wave: lrOffset = bnOffset + lrKOffset
v_lshrrev_b32 v3, 7, v[vgprSerial]                 // 7. wave offset in N dimen: wtid = tid / dividedForWaveId(128)
v_and_b32 v2, 1, v3                                // 7. wave offset in M dimen: wtid0 = wtid / num1DWaves(2)
v_lshlrev_b32 v2, 0x7, v2                          // 7. wave offset in M dimen: wOffset = wtid0 * W0Stride(128)
_v_add_u32 v1, v2, v1                              // 8. final local read offset: flrOffset = lrOffset + WOffset


/* local read addresses: final offsets a */

v_lshlrev_b32 v[vgprLocalReadAddrA], 0x0, v0       // Final Offset: offset = (lro0)*bpe


/* local read addresses: final offsets b */

v_lshlrev_b32 v[vgprLocalReadAddrB], 0x0, v1       // Final Offset: offset = (lro1)*bpe


/* local read addresses: declare addresses a */

/* N/A */


/* local read addresses: declare addresses b */

_v_add_co_u32 v[vgprLocalReadAddrB+0], vcc, 0x2000, v[vgprLocalReadAddrB+0] //  += LdsOffsetB (lower)
s_waitcnt lgkmcnt(0)                               // wait for 156 bytes of kern args

s_mul_i32 s64, s[sgprWorkGroup2], 8                // offset of global buffer address
_s_load_b64 s[sgprAddressD:sgprAddressD+1], s[sgprAddressD:sgprAddressD+1], s64 // load global buffer D address
s_cmp_eq_u32 s[sgprBeta], 0                        // Beta == 0 ?
s_cbranch_scc1 label_skip_c_buffer_deref_WorkGroup2_10 // branch if beta == 0
s_mul_i32 s64, s[sgprWorkGroup2], 8                // offset of global buffer address
_s_load_b64 s[sgprAddressC:sgprAddressC+1], s[sgprAddressC:sgprAddressC+1], s64 // load global buffer C address
label_skip_c_buffer_deref_WorkGroup2_10: // 
s_mov_b32 s64, 0x1                                 // check summation size
s_mul_i32 s64, s[sgprSizesSum+0], s64              // check summation size
s_cmp_eq_u32 s64, 0x0                              // skip buffer deref is size of summation is 0
s_cbranch_scc1 label_skip_ab_buffer_deref_WorkGroup2_11 // skip buffer deref is size of summation is 0
s_cmp_eq_u32 s[sgprAlpha], 0                       // Alpha == 0 ?
s_cbranch_scc1 label_skip_ab_buffer_deref_WorkGroup2_11 // branch if alpha == 0
s_mul_i32 s64, s[sgprWorkGroup2], 8                // offset of global buffer address
_s_load_b64 s[sgprAddressA:sgprAddressA+1], s[sgprAddressA:sgprAddressA+1], s64 // load global buffer A address
_s_load_b64 s[sgprAddressB:sgprAddressB+1], s[sgprAddressB:sgprAddressB+1], s64 // load global buffer B address
label_skip_ab_buffer_deref_WorkGroup2_11: // 
s_waitcnt lgkmcnt(0)                               // wait global buffer address ready
s_lshl_b64 s[sgprOffsetD:sgprOffsetD+1], s[sgprOffsetD:sgprOffsetD+1], 0x2 // elements offset to bytes offset
s_add_u32 s[sgprAddressD+0], s[sgprAddressD+0], s[sgprOffsetD] // add offset to buffer address
s_addc_u32 s[sgprAddressD+1], s[sgprAddressD+1], s[sgprOffsetD+1] // add offset to buffer address
s_lshl_b64 s[sgprOffsetC:sgprOffsetC+1], s[sgprOffsetC:sgprOffsetC+1], 0x2 // elements offset to bytes offset
s_add_u32 s[sgprAddressC+0], s[sgprAddressC+0], s[sgprOffsetC] // add offset to buffer address
s_addc_u32 s[sgprAddressC+1], s[sgprAddressC+1], s[sgprOffsetC+1] // add offset to buffer address
s_lshl_b64 s[sgprOffsetA:sgprOffsetA+1], s[sgprOffsetA:sgprOffsetA+1], 0x0 // elements offset to bytes offset
s_add_u32 s[sgprAddressA+0], s[sgprAddressA+0], s[sgprOffsetA] // add offset to buffer address
s_addc_u32 s[sgprAddressA+1], s[sgprAddressA+1], s[sgprOffsetA+1] // add offset to buffer address
s_lshl_b64 s[sgprOffsetB:sgprOffsetB+1], s[sgprOffsetB:sgprOffsetB+1], 0x0 // elements offset to bytes offset
s_add_u32 s[sgprAddressB+0], s[sgprAddressB+0], s[sgprOffsetB] // add offset to buffer address
s_addc_u32 s[sgprAddressB+1], s[sgprAddressB+1], s[sgprOffsetB+1] // add offset to buffer address
s_sub_u32 s[sgprAddressA+0], s[sgprAddressA+0], 16 // pre-pad to make room for possible pointer shift
s_subb_u32 s[sgprAddressA+1], s[sgprAddressA+1], 0 // pre-pad to make room for possible pointer shift
s_sub_u32 s[sgprAddressB+0], s[sgprAddressB+0], 16 // pre-pad to make room for possible pointer shift
s_subb_u32 s[sgprAddressB+1], s[sgprAddressB+1], 0 // pre-pad to make room for possible pointer shift

.set OffsetD, UNDEF
.set OffsetC, UNDEF
.set OffsetA, UNDEF
.set OffsetB, UNDEF

/* Short circuit condition if Alpha == 0, then sumDims=0 */
s_cmp_eq_u32 s[sgprAlpha], 0                       // Alpha == 0 ?
s_cmov_b32 s[sgprSizesSum+0], 0x0                  // Set summation dim=0 if Alpha == 0
s_mov_b32 s[sgprSerialWorkGroupIter], s[sgprWorkGroup0] // init SerialWorkGroupIter


/******************************************/
/* Persistent Loop Start                  */
/******************************************/
label_0012: // PersistentLoopStart 


/******************************************/
/* Begin setupNewTile, isPap=False           */
/******************************************/


/* global read addresses: work-group */


/* localReadResetOffsets */
/* handled internally */
v_and_b32 v[vgprLocalReadAddrA], 0x3fff, v[vgprLocalReadAddrA] // reset Red,Blk -> Red

/* localReadResetOffsets */
/* handled internally */
v_and_b32 v[vgprLocalReadAddrB], 0x3fff, v[vgprLocalReadAddrB] // reset Red,Blk -> Red
/* compute SerialWorkGroupIter / problemNumGroupTiles0 (aka numWorkGroups0) */
s_mul_hi_u32 s65, s[sgprSerialWorkGroupIter], s[sgprMagicNumberProblemNumGroupTiles0] //  s_magic mul, div alg 2
s_lshr_b32 s66, s[sgprMagicShiftProblemNumGroupTiles0], 31 //  tmpS = extract abit
s_mul_i32 s64, s[sgprSerialWorkGroupIter], s66     //  s_magic mul, div alg 2
s_add_u32 s64, s64, s65                            // 
s_and_b32 s66, s[sgprMagicShiftProblemNumGroupTiles0], 0x7fffffff //  tmpS = remove abit to final shift
s_lshr_b32 s64, s64, s66                           //  sMagicDiv Alg 2
s_mov_b32 s[sgprWorkGroup1], s64                   // wg1 = SerialWorkGroupIter / problemNumGroupTiles0
s_mul_i32 s[sgprWorkGroup0], s64, s[sgprNumWorkGroups0] // remainder part 1 : quotient * divisor
s_sub_u32 s[sgprWorkGroup0], s[sgprSerialWorkGroupIter], s[sgprWorkGroup0] // wg0 = SerialWorkGroupIter % problemNumGroupTiles0

/* graWorkGroup mapping */


/* global read addresses: tile offset assignment a */

/* LVCA = 16 */
/* v0 = (local)groA-tile = serial%LVCA (note (wgA*MTA) will be added to SRD) */
/* v1 = groA-unroll = serial/LVCA */
v_and_b32 v2, 63, v[vgprSerial]                    // v2 = v[vgprSerial] % 64
v_lshrrev_b32 v1, 4, v2                            // v1 = v2 / 16
v_and_b32 v0, 15, v2                               // v0 = v2 % 16
v_readfirstlane_b32 s42, v[vgprSerial]             // WaveIdxWavefrontWidth
s_lshr_b32 s42, s42, 0x6                           // WaveId
s_mul_i32 s42, s42, 8                              // Global Read Wave: each wave loads continuous lsp(4)*nrp(2) columns
_v_add_u32 v1, s42, v1                             // Global Read Wave: add back to column index
/* gro-tile *= glvw */
v_lshlrev_b32 v0, 0x4, v0                          // v0 = v0 * 16


/* global read addresses: tile offset assignment b */

/* LVCB = 16 */
/* v2 = (local)groB-tile = serial%LVCB (note (wgB*MTB) will be added to SRD) */
/* v3 = groB-unroll = serial/LVCB */
v_and_b32 v4, 63, v[vgprSerial]                    // v4 = v[vgprSerial] % 64
v_lshrrev_b32 v3, 4, v4                            // v3 = v4 / 16
v_and_b32 v2, 15, v4                               // v2 = v4 % 16
v_readfirstlane_b32 s42, v[vgprSerial]             // WaveIdxWavefrontWidth
s_lshr_b32 s42, s42, 0x6                           // WaveId
s_mul_i32 s42, s42, 8                              // Global Read Wave: each wave loads continuous lsp(4)*nrp(2) columns
_v_add_u32 v3, s42, v3                             // Global Read Wave: add back to column index
/* gro-tile *= glvw */
v_lshlrev_b32 v2, 0x4, v2                          // v2 = v2 * 16


/* global read addresses: unroll assignment a */

/* v1 */


/* global read addresses: unroll assignment b */

/* v3 */


/* global read addresses: other free assignments */

/* s[sgprWorkGroup2] */


/* global read addresses: tile offsets a */

v_mov_b32 v4, v0                                   // groA0I_0


/* global read addresses: tile offsets b */

v_mov_b32 v5, v2                                   // groB1J_0


/* global read addresses: unroll offsets a */

v_mov_b32 v6, v1                                   // groAL_0
_v_add_co_u32 v7, vcc, 4, v6                       // groAL_1 + LSPA


/* global read addresses: unroll offsets b */

v_mov_b32 v8, v3                                   // groBL_0
_v_add_co_u32 v9, vcc, 4, v8                       // groBL_1 + LSPB


/* global read addresses: shift a */

s_mul_i32 s42, s[sgprWorkGroup0], 256              // WorkGroup[01] * MT
s_sub_u32 s42, s[sgprSizeI], s42                   // edge = Size0I - WG*MT
s_sub_u32 s42, s42, 16                             // edge -= margin(16)
v_mov_b32 v10, s42                                 // edge vgpr = Size0I- WG*MT - margin(16)
v_min_i32 v4, v10, v4                              // offset = (offset < edge) ? offset(v4) : edge(v10)


/* global read addresses: shift b */

s_mul_i32 s42, s[sgprWorkGroup1], 256              // WorkGroup[01] * MT
s_sub_u32 s42, s[sgprSizeJ], s42                   // edge = Size1J - WG*MT
s_sub_u32 s42, s42, 16                             // edge -= margin(16)
v_mov_b32 v10, s42                                 // edge vgpr = Size1J- WG*MT - margin(16)
v_min_i32 v5, v10, v5                              // offset = (offset < edge) ? offset(v5) : edge(v10)


/* global read addresses: final offsets a */

GLOBAL_OFFSET_A vgprGlobalReadOffsetA+0,  4,  6, 10 // gROA_0_0_0_0
GLOBAL_OFFSET_A vgprGlobalReadOffsetA+1,  4,  7, 10 // gROA_0_0_1_0


/* global read addresses: final offsets b */

GLOBAL_OFFSET_B vgprGlobalReadOffsetB+0,  5,  8, 10 // gROB_0_0_0_0
GLOBAL_OFFSET_B vgprGlobalReadOffsetB+1,  5,  9, 10 // gROB_0_0_1_0


/* global read addresses: addresses a */

/* max read offset = size[n] * stride[n-1] */
s_mul_hi_u32 s65, s[sgprWorkGroup0], 256           // WorkGroup[01] * MT
s_mul_i32 s64, s[sgprWorkGroup0], 256              // WorkGroup[01] * MT
s_sub_u32 s[sgprShadowLimitA+0], s[sgprTensor2dSizeA], s64 // sub tileStart
s_subb_u32 s[sgprShadowLimitA+1], s[sgprTensor2dSizeA+1], s65 // sub tileStart
s_lshl_b64 s[sgprShadowLimitA:sgprShadowLimitA+1], s[sgprShadowLimitA:sgprShadowLimitA+1], 0x0 // Set limit to use bytes
s_add_u32 s[sgprShadowLimitA+0], s[sgprShadowLimitA+0], 16 // extend limit for pre-pad
s_addc_u32 s[sgprShadowLimitA+1], s[sgprShadowLimitA+1], 0 // extend limit for pre-pad
s_cmp_eq_u32 s[sgprShadowLimitA+1], 0              // are we within 2^32?
s_cselect_b32 s[sgprSrdA+2], s[sgprShadowLimitA+0], BufferLimitA // Move shadow to real if we are within 2^32
                                                   // tileStart *= BPE (multiplier is 1, do nothing)
s_add_u32 s[sgprSrdA+0], s[sgprAddressA+0], s64    // SRD base = Address+ tileStart0
s_addc_u32 s[sgprSrdA+1], s[sgprAddressA+1], s65   // SRD base = Address+ tileStart1
s_mov_b32 s[sgprSrdA+3], Srd127_96                 // Set bits 127_96 in SRD


/* global read addresses: addresses b */

/* max read offset = size[n] * stride[n-1] */
s_mul_hi_u32 s65, s[sgprWorkGroup1], 256           // WorkGroup[01] * MT
s_mul_i32 s64, s[sgprWorkGroup1], 256              // WorkGroup[01] * MT
s_sub_u32 s[sgprShadowLimitB+0], s[sgprTensor2dSizeB], s64 // sub tileStart
s_subb_u32 s[sgprShadowLimitB+1], s[sgprTensor2dSizeB+1], s65 // sub tileStart
s_lshl_b64 s[sgprShadowLimitB:sgprShadowLimitB+1], s[sgprShadowLimitB:sgprShadowLimitB+1], 0x0 // Set limit to use bytes
s_add_u32 s[sgprShadowLimitB+0], s[sgprShadowLimitB+0], 16 // extend limit for pre-pad
s_addc_u32 s[sgprShadowLimitB+1], s[sgprShadowLimitB+1], 0 // extend limit for pre-pad
s_cmp_eq_u32 s[sgprShadowLimitB+1], 0              // are we within 2^32?
s_cselect_b32 s[sgprSrdB+2], s[sgprShadowLimitB+0], BufferLimitB // Move shadow to real if we are within 2^32
                                                   // tileStart *= BPE (multiplier is 1, do nothing)
s_add_u32 s[sgprSrdB+0], s[sgprAddressB+0], s64    // SRD base = Address+ tileStart0
s_addc_u32 s[sgprSrdB+1], s[sgprAddressB+1], s65   // SRD base = Address+ tileStart1
s_mov_b32 s[sgprSrdB+3], Srd127_96                 // Set bits 127_96 in SRD


/* global read addresses: increments a */

s_mul_i32 s[sgprGlobalReadIncsA+0], DepthU*BpeA, s[sgprStrideAL] // incrA unrollIdx)


/* global read addresses: increments b */

s_mul_i32 s[sgprGlobalReadIncsB+0], DepthU*BpeB, s[sgprStrideBL] // incrB unrollIdx)


/******************************************/
/* Local Write Addresses                  */
/******************************************/

/* lwaTileAssignmentA = v0 */

/* lwaTileAssignmentB = v2 */

/* lwaUnrollAssignmentA = v1 */

/* lwaUnrollAssignmentB = v3 */


/* local write addresses: first offset a */

v_mul_u32_u24 v[vgprLocalWriteAddrA], 0x100, v1    // lwAL**(MTA + PAD)
_v_add_lshl_u32 v[vgprLocalWriteAddrA], v0, v[vgprLocalWriteAddrA], 0x0 // lwFOA = (lwAA + lwAL*(MT0I+PAD))*bpe


/* local write addresses: first offset b */

v_mul_u32_u24 v[vgprLocalWriteAddrB], 0x100, v3    // lwBL**(MTB + PAD)
_v_add_lshl_u32 v[vgprLocalWriteAddrB], v2, v[vgprLocalWriteAddrB], 0x0 // lwFOB = (lwBB + lwBL*(MT1J+PAD))*bpe
_v_add_co_u32 v[vgprLocalWriteAddrB], vcc, 0x2000, v[vgprLocalWriteAddrB] // lwFOB = lwB1J + lwBL*MT1J + LDS_OFFSET_B=8192*1


	;; [unrolled: 1-line block ×7, first 2 shown]
/* declare loop num iterations */


s_lshr_b32 s[sgprLoopCounterL], s[sgprSizesSum+0], 5 // s[sgprLoopCounterL] = s[sgprSizesSum+0] / 32
s_mov_b32 s[sgprOrigLoopCounter], s[sgprLoopCounterL] // copy loop counter

/* local read addresses: init pointers a */


/* localReadInitPointers */

/* local read addresses: init pointers b */


/* localReadInitPointers */


/* prefetch: global -> local */

s_cmp_eq_u32 s[sgprLoopCounterL], 0                // at last iteration?
s_cbranch_scc1 ShadowInitStart_13                  // skip to ShadowInitStart iter b/c numIter==0


_buffer_load_b128 v[vgprG2LA+0:vgprG2LA+0+3], v[vgprGlobalReadOffsetA+0], s[sgprSrdA:sgprSrdA+3], 0, offen offset:0 // G -> Reg 0_0_0_0
_buffer_load_b128 v[vgprG2LA+4:vgprG2LA+4+3], v[vgprGlobalReadOffsetA+1], s[sgprSrdA:sgprSrdA+3], 0, offen offset:0 // G -> Reg 0_0_1_0


_buffer_load_b128 v[vgprG2LB+0:vgprG2LB+0+3], v[vgprGlobalReadOffsetB+0], s[sgprSrdB:sgprSrdB+3], 0, offen offset:0 // G -> Reg 0_0_0_0
_buffer_load_b128 v[vgprG2LB+4:vgprG2LB+4+3], v[vgprGlobalReadOffsetB+1], s[sgprSrdB:sgprSrdB+3], 0, offen offset:0 // G -> Reg 0_0_1_0


/* global read inc A loopL */
s_add_u32 s[sgprSrdA+0], s[sgprSrdA+0], s[sgprGlobalReadIncsA+0] // gra SRD += inc(lower)
s_addc_u32  s[sgprSrdA+1], s[sgprSrdA+1], 0        // gra SRD += inc(upper)
s_sub_u32 s[sgprShadowLimitA+0], s[sgprShadowLimitA+0], s[sgprGlobalReadIncsA+0] // limit -= inc)
s_subb_u32 s[sgprShadowLimitA+1], s[sgprShadowLimitA+1], 0 // limit -= inc)
s_cmp_eq_u32 s[sgprShadowLimitA+1], 0              // are we within 2^32?
s_cmov_b32 s[sgprSrdA+2], s[sgprShadowLimitA+0]    // Move shadow to real if we are within 2^32

/* global read inc B loopL */
s_add_u32 s[sgprSrdB+0], s[sgprSrdB+0], s[sgprGlobalReadIncsB+0] // gra SRD += inc(lower)
s_addc_u32  s[sgprSrdB+1], s[sgprSrdB+1], 0        // gra SRD += inc(upper)
s_sub_u32 s[sgprShadowLimitB+0], s[sgprShadowLimitB+0], s[sgprGlobalReadIncsB+0] // limit -= inc)
s_subb_u32 s[sgprShadowLimitB+1], s[sgprShadowLimitB+1], 0 // limit -= inc)
s_cmp_eq_u32 s[sgprShadowLimitB+1], 0              // are we within 2^32?
s_cmov_b32 s[sgprSrdB+2], s[sgprShadowLimitB+0]    // Move shadow to real if we are within 2^32


/******************************************/
/* End setupNewTile, isPap=False             */
/******************************************/

ShadowInitStart_13: // 

s_mov_b32 s[sgprSrdD+0], s[sgprAddressD+0]         // init SRD base address (lower)
s_mov_b32 s[sgprSrdD+1], s[sgprAddressD+1]         // init SRD base address (upper) + other fields
s_mov_b32 s[sgprSrdD+2], BufferOOB                 // 
s_mov_b32 s[sgprSrdD+3], Srd127_96                 // Set bits 127_96 in post-loop SRD

s_mov_b32 s[sgprSrdC+0], s[sgprAddressC+0]         // init SRD base address (lower)
s_mov_b32 s[sgprSrdC+1], s[sgprAddressC+1]         // init SRD base address (upper) + other fields
s_mov_b32 s[sgprSrdC+2], BufferOOB                 // 
s_mov_b32 s[sgprSrdC+3], Srd127_96                 // Set bits 127_96 in post-loop SRD


s_mul_i32 s66, MT1, s[sgprWorkGroup1]              // <- wg1*MT1
s_mul_hi_u32 s65, s66, s[sgprStrideC1J]            // CScale s66 by Stride
s_mul_i32 s64, s66, s[sgprStrideC1J]               // CScale s66 by Stride
s_lshl_b64 s[64:65], s[64:65], 2                   // scale by bpe
s_add_u32 s[sgprSrdC+0], s[sgprAddressC+0], s64    // add lo to SRD
s_addc_u32 s[sgprSrdC+1], s[sgprAddressC+1], s65   // add hi to SRD
s_mul_hi_u32 s65, s66, s[sgprStrideD1J]            // Scale s66 by Stride
s_mul_i32 s64, s66, s[sgprStrideD1J]               // Scale s66 by Stride
s_lshl_b64 s[64:65], s[64:65], 2                   // scale by bpe
s_add_u32 s[sgprSrdD+0], s[sgprAddressD+0], s64    // add lo to SRD
s_addc_u32 s[sgprSrdD+1], s[sgprAddressD+1], s65   // add hi to SRD


	;; [unrolled: 1-line block ×3, first 2 shown]
/* initC: remove C-tile 0-0 from pool */

/* initC: remove AB-tile 0-16 from pool */
v_accvgpr_write acc0, 0x0                          // initC
v_accvgpr_write acc1, 0x0                          // initC
v_accvgpr_write acc2, 0x0                          // initC
v_accvgpr_write acc3, 0x0                          // initC
v_accvgpr_write acc4, 0x0                          // initC
v_accvgpr_write acc5, 0x0                          // initC
v_accvgpr_write acc6, 0x0                          // initC
v_accvgpr_write acc7, 0x0                          // initC
v_accvgpr_write acc8, 0x0                          // initC
v_accvgpr_write acc9, 0x0                          // initC
v_accvgpr_write acc10, 0x0                         // initC
v_accvgpr_write acc11, 0x0                         // initC
v_accvgpr_write acc12, 0x0                         // initC
v_accvgpr_write acc13, 0x0                         // initC
v_accvgpr_write acc14, 0x0                         // initC
v_accvgpr_write acc15, 0x0                         // initC
v_accvgpr_write acc16, 0x0                         // initC
v_accvgpr_write acc17, 0x0                         // initC
v_accvgpr_write acc18, 0x0                         // initC
v_accvgpr_write acc19, 0x0                         // initC
v_accvgpr_write acc20, 0x0                         // initC
v_accvgpr_write acc21, 0x0                         // initC
v_accvgpr_write acc22, 0x0                         // initC
v_accvgpr_write acc23, 0x0                         // initC
v_accvgpr_write acc24, 0x0                         // initC
v_accvgpr_write acc25, 0x0                         // initC
v_accvgpr_write acc26, 0x0                         // initC
v_accvgpr_write acc27, 0x0                         // initC
v_accvgpr_write acc28, 0x0                         // initC
v_accvgpr_write acc29, 0x0                         // initC
v_accvgpr_write acc30, 0x0                         // initC
v_accvgpr_write acc31, 0x0                         // initC
v_accvgpr_write acc32, 0x0                         // initC
v_accvgpr_write acc33, 0x0                         // initC
v_accvgpr_write acc34, 0x0                         // initC
v_accvgpr_write acc35, 0x0                         // initC
v_accvgpr_write acc36, 0x0                         // initC
v_accvgpr_write acc37, 0x0                         // initC
v_accvgpr_write acc38, 0x0                         // initC
v_accvgpr_write acc39, 0x0                         // initC
v_accvgpr_write acc40, 0x0                         // initC
v_accvgpr_write acc41, 0x0                         // initC
v_accvgpr_write acc42, 0x0                         // initC
v_accvgpr_write acc43, 0x0                         // initC
v_accvgpr_write acc44, 0x0                         // initC
v_accvgpr_write acc45, 0x0                         // initC
v_accvgpr_write acc46, 0x0                         // initC
v_accvgpr_write acc47, 0x0                         // initC
v_accvgpr_write acc48, 0x0                         // initC
v_accvgpr_write acc49, 0x0                         // initC
v_accvgpr_write acc50, 0x0                         // initC
v_accvgpr_write acc51, 0x0                         // initC
v_accvgpr_write acc52, 0x0                         // initC
v_accvgpr_write acc53, 0x0                         // initC
v_accvgpr_write acc54, 0x0                         // initC
v_accvgpr_write acc55, 0x0                         // initC
v_accvgpr_write acc56, 0x0                         // initC
v_accvgpr_write acc57, 0x0                         // initC
v_accvgpr_write acc58, 0x0                         // initC
v_accvgpr_write acc59, 0x0                         // initC
v_accvgpr_write acc60, 0x0                         // initC
v_accvgpr_write acc61, 0x0                         // initC
v_accvgpr_write acc62, 0x0                         // initC
v_accvgpr_write acc63, 0x0                         // initC
v_accvgpr_write acc64, 0x0                         // initC
v_accvgpr_write acc65, 0x0                         // initC
v_accvgpr_write acc66, 0x0                         // initC
v_accvgpr_write acc67, 0x0                         // initC
v_accvgpr_write acc68, 0x0                         // initC
v_accvgpr_write acc69, 0x0                         // initC
v_accvgpr_write acc70, 0x0                         // initC
v_accvgpr_write acc71, 0x0                         // initC
v_accvgpr_write acc72, 0x0                         // initC
v_accvgpr_write acc73, 0x0                         // initC
v_accvgpr_write acc74, 0x0                         // initC
v_accvgpr_write acc75, 0x0                         // initC
v_accvgpr_write acc76, 0x0                         // initC
v_accvgpr_write acc77, 0x0                         // initC
v_accvgpr_write acc78, 0x0                         // initC
v_accvgpr_write acc79, 0x0                         // initC
v_accvgpr_write acc80, 0x0                         // initC
v_accvgpr_write acc81, 0x0                         // initC
v_accvgpr_write acc82, 0x0                         // initC
v_accvgpr_write acc83, 0x0                         // initC
v_accvgpr_write acc84, 0x0                         // initC
v_accvgpr_write acc85, 0x0                         // initC
v_accvgpr_write acc86, 0x0                         // initC
v_accvgpr_write acc87, 0x0                         // initC
v_accvgpr_write acc88, 0x0                         // initC
v_accvgpr_write acc89, 0x0                         // initC
v_accvgpr_write acc90, 0x0                         // initC
v_accvgpr_write acc91, 0x0                         // initC
v_accvgpr_write acc92, 0x0                         // initC
v_accvgpr_write acc93, 0x0                         // initC
v_accvgpr_write acc94, 0x0                         // initC
v_accvgpr_write acc95, 0x0                         // initC
v_accvgpr_write acc96, 0x0                         // initC
v_accvgpr_write acc97, 0x0                         // initC
v_accvgpr_write acc98, 0x0                         // initC
v_accvgpr_write acc99, 0x0                         // initC
v_accvgpr_write acc100, 0x0                        // initC
v_accvgpr_write acc101, 0x0                        // initC
v_accvgpr_write acc102, 0x0                        // initC
v_accvgpr_write acc103, 0x0                        // initC
v_accvgpr_write acc104, 0x0                        // initC
v_accvgpr_write acc105, 0x0                        // initC
v_accvgpr_write acc106, 0x0                        // initC
v_accvgpr_write acc107, 0x0                        // initC
v_accvgpr_write acc108, 0x0                        // initC
v_accvgpr_write acc109, 0x0                        // initC
v_accvgpr_write acc110, 0x0                        // initC
v_accvgpr_write acc111, 0x0                        // initC
v_accvgpr_write acc112, 0x0                        // initC
v_accvgpr_write acc113, 0x0                        // initC
v_accvgpr_write acc114, 0x0                        // initC
v_accvgpr_write acc115, 0x0                        // initC
v_accvgpr_write acc116, 0x0                        // initC
v_accvgpr_write acc117, 0x0                        // initC
v_accvgpr_write acc118, 0x0                        // initC
v_accvgpr_write acc119, 0x0                        // initC
v_accvgpr_write acc120, 0x0                        // initC
v_accvgpr_write acc121, 0x0                        // initC
v_accvgpr_write acc122, 0x0                        // initC
v_accvgpr_write acc123, 0x0                        // initC
v_accvgpr_write acc124, 0x0                        // initC
v_accvgpr_write acc125, 0x0                        // initC
v_accvgpr_write acc126, 0x0                        // initC
v_accvgpr_write acc127, 0x0                        // initC
v_accvgpr_write acc128, 0x0                        // initC
v_accvgpr_write acc129, 0x0                        // initC
v_accvgpr_write acc130, 0x0                        // initC
v_accvgpr_write acc131, 0x0                        // initC
v_accvgpr_write acc132, 0x0                        // initC
v_accvgpr_write acc133, 0x0                        // initC
v_accvgpr_write acc134, 0x0                        // initC
v_accvgpr_write acc135, 0x0                        // initC
v_accvgpr_write acc136, 0x0                        // initC
v_accvgpr_write acc137, 0x0                        // initC
v_accvgpr_write acc138, 0x0                        // initC
v_accvgpr_write acc139, 0x0                        // initC
v_accvgpr_write acc140, 0x0                        // initC
v_accvgpr_write acc141, 0x0                        // initC
v_accvgpr_write acc142, 0x0                        // initC
v_accvgpr_write acc143, 0x0                        // initC
v_accvgpr_write acc144, 0x0                        // initC
v_accvgpr_write acc145, 0x0                        // initC
v_accvgpr_write acc146, 0x0                        // initC
v_accvgpr_write acc147, 0x0                        // initC
v_accvgpr_write acc148, 0x0                        // initC
v_accvgpr_write acc149, 0x0                        // initC
v_accvgpr_write acc150, 0x0                        // initC
v_accvgpr_write acc151, 0x0                        // initC
v_accvgpr_write acc152, 0x0                        // initC
v_accvgpr_write acc153, 0x0                        // initC
v_accvgpr_write acc154, 0x0                        // initC
v_accvgpr_write acc155, 0x0                        // initC
v_accvgpr_write acc156, 0x0                        // initC
v_accvgpr_write acc157, 0x0                        // initC
v_accvgpr_write acc158, 0x0                        // initC
v_accvgpr_write acc159, 0x0                        // initC
v_accvgpr_write acc160, 0x0                        // initC
v_accvgpr_write acc161, 0x0                        // initC
v_accvgpr_write acc162, 0x0                        // initC
v_accvgpr_write acc163, 0x0                        // initC
v_accvgpr_write acc164, 0x0                        // initC
v_accvgpr_write acc165, 0x0                        // initC
v_accvgpr_write acc166, 0x0                        // initC
v_accvgpr_write acc167, 0x0                        // initC
v_accvgpr_write acc168, 0x0                        // initC
v_accvgpr_write acc169, 0x0                        // initC
v_accvgpr_write acc170, 0x0                        // initC
v_accvgpr_write acc171, 0x0                        // initC
v_accvgpr_write acc172, 0x0                        // initC
v_accvgpr_write acc173, 0x0                        // initC
v_accvgpr_write acc174, 0x0                        // initC
v_accvgpr_write acc175, 0x0                        // initC
v_accvgpr_write acc176, 0x0                        // initC
v_accvgpr_write acc177, 0x0                        // initC
v_accvgpr_write acc178, 0x0                        // initC
v_accvgpr_write acc179, 0x0                        // initC
v_accvgpr_write acc180, 0x0                        // initC
v_accvgpr_write acc181, 0x0                        // initC
v_accvgpr_write acc182, 0x0                        // initC
v_accvgpr_write acc183, 0x0                        // initC
v_accvgpr_write acc184, 0x0                        // initC
v_accvgpr_write acc185, 0x0                        // initC
v_accvgpr_write acc186, 0x0                        // initC
v_accvgpr_write acc187, 0x0                        // initC
v_accvgpr_write acc188, 0x0                        // initC
v_accvgpr_write acc189, 0x0                        // initC
v_accvgpr_write acc190, 0x0                        // initC
v_accvgpr_write acc191, 0x0                        // initC
v_accvgpr_write acc192, 0x0                        // initC
v_accvgpr_write acc193, 0x0                        // initC
v_accvgpr_write acc194, 0x0                        // initC
v_accvgpr_write acc195, 0x0                        // initC
v_accvgpr_write acc196, 0x0                        // initC
v_accvgpr_write acc197, 0x0                        // initC
v_accvgpr_write acc198, 0x0                        // initC
v_accvgpr_write acc199, 0x0                        // initC
v_accvgpr_write acc200, 0x0                        // initC
v_accvgpr_write acc201, 0x0                        // initC
v_accvgpr_write acc202, 0x0                        // initC
v_accvgpr_write acc203, 0x0                        // initC
v_accvgpr_write acc204, 0x0                        // initC
v_accvgpr_write acc205, 0x0                        // initC
v_accvgpr_write acc206, 0x0                        // initC
v_accvgpr_write acc207, 0x0                        // initC
v_accvgpr_write acc208, 0x0                        // initC
v_accvgpr_write acc209, 0x0                        // initC
v_accvgpr_write acc210, 0x0                        // initC
v_accvgpr_write acc211, 0x0                        // initC
v_accvgpr_write acc212, 0x0                        // initC
v_accvgpr_write acc213, 0x0                        // initC
v_accvgpr_write acc214, 0x0                        // initC
v_accvgpr_write acc215, 0x0                        // initC
v_accvgpr_write acc216, 0x0                        // initC
v_accvgpr_write acc217, 0x0                        // initC
v_accvgpr_write acc218, 0x0                        // initC
v_accvgpr_write acc219, 0x0                        // initC
v_accvgpr_write acc220, 0x0                        // initC
v_accvgpr_write acc221, 0x0                        // initC
v_accvgpr_write acc222, 0x0                        // initC
v_accvgpr_write acc223, 0x0                        // initC
v_accvgpr_write acc224, 0x0                        // initC
v_accvgpr_write acc225, 0x0                        // initC
v_accvgpr_write acc226, 0x0                        // initC
v_accvgpr_write acc227, 0x0                        // initC
v_accvgpr_write acc228, 0x0                        // initC
v_accvgpr_write acc229, 0x0                        // initC
v_accvgpr_write acc230, 0x0                        // initC
v_accvgpr_write acc231, 0x0                        // initC
v_accvgpr_write acc232, 0x0                        // initC
v_accvgpr_write acc233, 0x0                        // initC
v_accvgpr_write acc234, 0x0                        // initC
v_accvgpr_write acc235, 0x0                        // initC
v_accvgpr_write acc236, 0x0                        // initC
v_accvgpr_write acc237, 0x0                        // initC
v_accvgpr_write acc238, 0x0                        // initC
v_accvgpr_write acc239, 0x0                        // initC
v_accvgpr_write acc240, 0x0                        // initC
v_accvgpr_write acc241, 0x0                        // initC
v_accvgpr_write acc242, 0x0                        // initC
v_accvgpr_write acc243, 0x0                        // initC
v_accvgpr_write acc244, 0x0                        // initC
v_accvgpr_write acc245, 0x0                        // initC
v_accvgpr_write acc246, 0x0                        // initC
v_accvgpr_write acc247, 0x0                        // initC
v_accvgpr_write acc248, 0x0                        // initC
v_accvgpr_write acc249, 0x0                        // initC
v_accvgpr_write acc250, 0x0                        // initC
v_accvgpr_write acc251, 0x0                        // initC
v_accvgpr_write acc252, 0x0                        // initC
v_accvgpr_write acc253, 0x0                        // initC
v_accvgpr_write acc254, 0x0                        // initC
v_accvgpr_write acc255, 0x0                        // initC
/* move to next serial WG */
s_add_u32 s[sgprSerialWorkGroupIter], s[sgprSerialWorkGroupIter], s[sgprGridNumWorkGroups0] // Move Serial forward by numworkgroups - will map to new wg0/wg1 later

s_cmp_eq_u32 s[sgprLoopCounterL], 0                // at last iteration?

/* after InitC, skip to end of prefetch last iter if numIter==0 */
s_cbranch_scc0 label_NoBranch_14                   // Only branch on scc1
s_getpc_B64 s[64:65]                               // addr of next instr
s_add_i32 s66, PrefetchGlobalLastIterEnd_5, 0x4    // target branch offset
s_add_u32 s64, s64, s66                            // add target branch offset
s_addc_u32 s65, s65, 0                             // add high and carry
s_setpc_b64 s[64:65]                               // branch to PrefetchGlobalLastIterEnd_5
label_NoBranch_14:

s_waitcnt vmcnt(0)                                 // lgkmcnt=-1 vmcnt=0 8wait for global read

s_barrier// for PersistentKernel / StreamK 


/* local write a */
_ds_store_b128 v[vgprLocalWriteAddrA], v[vgprG2LA+0:vgprG2LA+0+3] offset:0 // lwoA_0_0_0_0 = (0*LSCA) + (0*LSPA)(*MT0I+PAD) = 0
_ds_store_b128 v[vgprLocalWriteAddrA], v[vgprG2LA+4:vgprG2LA+4+3] offset:1024 // lwoA_0_0_1_0 = (0*LSCA) + (1*LSPA)(*MT0I+PAD) = 1024

/* local write b */
_ds_store_b128 v[vgprLocalWriteAddrB], v[vgprG2LB+0:vgprG2LB+0+3] offset:0 // lwoB_0_0_0_0 = (0*LSCB) + (0*LSPB)(*MT1J+PAD) = 0
_ds_store_b128 v[vgprLocalWriteAddrB], v[vgprG2LB+4:vgprG2LB+4+3] offset:1024 // lwoB_0_0_1_0 = (0*LSCB) + (1*LSPB)(*MT1J+PAD) = 1024


/* local write swap a */


/* (EPS=1) local write swap internal offset -> 16384 */


/* local write swap b */


/* (EPS=1) local write swap internal offset -> 16384 */



s_waitcnt lgkmcnt(0)                               // lgkmcnt=0 vmcnt=-10prefetch wait for local write

s_waitcnt lgkmcnt(0) & vmcnt(0)                    // force waitcnt0
s_barrier //


/* local read prefetch a */

_ds_load_u8 v[vgprValuA_X0_I0+0], v[vgprLocalReadAddrA] offset:0 // L -> Reg lro=0 swapByteOffset=0 ti=256 vIdx=0 rIdx=0 oIdx=0 buffer=0 iui=0
_ds_load_u8 v41, v[vgprLocalReadAddrA] offset:256  // L -> Reg lro=0 swapByteOffset=0 ti=256 vIdx=0 rIdx=1 oIdx=0 buffer=0 iui=0
_ds_load_u8_d16_hi v42, v[vgprLocalReadAddrA] offset:512 // L -> Reg lro=0 swapByteOffset=0 ti=256 vIdx=0 rIdx=2 oIdx=0 buffer=0 iui=0
_ds_load_u8_d16_hi v43, v[vgprLocalReadAddrA] offset:768 // L -> Reg lro=0 swapByteOffset=0 ti=256 vIdx=0 rIdx=3 oIdx=0 buffer=0 iui=0
_ds_load_u8 v[vgprValuA_X0_I0+1], v[vgprLocalReadAddrA] offset:1 // L -> Reg lro=0 swapByteOffset=0 ti=256 vIdx=0 rIdx=0 oIdx=0 buffer=0 iui=0
_ds_load_u8 v44, v[vgprLocalReadAddrA] offset:257  // L -> Reg lro=0 swapByteOffset=0 ti=256 vIdx=0 rIdx=1 oIdx=0 buffer=0 iui=0
_ds_load_u8_d16_hi v45, v[vgprLocalReadAddrA] offset:513 // L -> Reg lro=0 swapByteOffset=0 ti=256 vIdx=0 rIdx=2 oIdx=0 buffer=0 iui=0
_ds_load_u8_d16_hi v46, v[vgprLocalReadAddrA] offset:769 // L -> Reg lro=0 swapByteOffset=0 ti=256 vIdx=0 rIdx=3 oIdx=0 buffer=0 iui=0
	;; [unrolled: 4-line block ×4, first 2 shown]


/* local read prefetch b */

_ds_load_u8 v[vgprValuB_X0_I0+0], v[vgprLocalReadAddrB] offset:0 // L -> Reg lro=0 swapByteOffset=0 ti=256 vIdx=0 rIdx=0 oIdx=0 buffer=0 iui=0
_ds_load_u8 v53, v[vgprLocalReadAddrB] offset:256  // L -> Reg lro=0 swapByteOffset=0 ti=256 vIdx=0 rIdx=1 oIdx=0 buffer=0 iui=0
_ds_load_u8_d16_hi v54, v[vgprLocalReadAddrB] offset:512 // L -> Reg lro=0 swapByteOffset=0 ti=256 vIdx=0 rIdx=2 oIdx=0 buffer=0 iui=0
_ds_load_u8_d16_hi v55, v[vgprLocalReadAddrB] offset:768 // L -> Reg lro=0 swapByteOffset=0 ti=256 vIdx=0 rIdx=3 oIdx=0 buffer=0 iui=0
_ds_load_u8 v[vgprValuB_X0_I0+1], v[vgprLocalReadAddrB] offset:1 // L -> Reg lro=0 swapByteOffset=0 ti=256 vIdx=0 rIdx=0 oIdx=0 buffer=0 iui=0
_ds_load_u8 v56, v[vgprLocalReadAddrB] offset:257  // L -> Reg lro=0 swapByteOffset=0 ti=256 vIdx=0 rIdx=1 oIdx=0 buffer=0 iui=0
_ds_load_u8_d16_hi v57, v[vgprLocalReadAddrB] offset:513 // L -> Reg lro=0 swapByteOffset=0 ti=256 vIdx=0 rIdx=2 oIdx=0 buffer=0 iui=0
_ds_load_u8_d16_hi v58, v[vgprLocalReadAddrB] offset:769 // L -> Reg lro=0 swapByteOffset=0 ti=256 vIdx=0 rIdx=3 oIdx=0 buffer=0 iui=0
	;; [unrolled: 4-line block ×4, first 2 shown]


/* local read inc a */

/* N/A, lro->2048 */
/* self.localReadDoCntA 1 self.localReadDoCntB 1 */


/* local read inc b */

/* N/A, lro->2048 */
/* self.localReadDoCntA 1 self.localReadDoCntB 1 */


	;; [unrolled: 1-line block ×3, first 2 shown]
/******************************************/
/* Unrolled Loop(s) - Begin               */
/******************************************/

openLoopL_15:
s_cmp_le_u32 s[sgprLoopCounterL], 0x1              // LoopCounterL < EndCounter
s_cbranch_scc1 LoopEndL_2                          // do not enter LoopL
LoopBeginL_1:


/******************************************/
/* Unrolled Loop 1/2 - Begin              */
/******************************************/

label_0016: // LoopCopy1 


/* Begin Each Unroll: Check VGPR.checkin for INT8 LW */



/* iter 0 */

/*  grEndMfmaIndex:3, lwStartMfmaIndex:52, lwEndMfmaIndex:55  */
/*  numMfmaForLR:6, barrierMfmaIndex:57 */
/*  mfmaIndex:0  */
_buffer_load_b128 v[vgprG2LA+0:vgprG2LA+0+3], v[vgprGlobalReadOffsetA+0], s[sgprSrdA:sgprSrdA+3], 0, offen offset:0 // G -> Reg 0_0_0_0
s_waitcnt lgkmcnt(0)                               // lgkmcnt=0 vmcnt=-1wait for prior local read local write old=0, new=0 newLW=0 newLR=0
/* pack scheduling: packAIdx:3, packBIdx:3 */
_v_lshl_or_b32 v[vgprValuA_X0_I0+0], v41, 0x8, v[vgprValuA_X0_I0+0] // pack two int8 Vgpr to one half Vgpr
_v_lshl_or_b32 v42, v43, 0x8, v42                  // pack two int8 Vgpr to one half Vgpr
v_or_b32 v[vgprValuA_X0_I0+0], v[vgprValuA_X0_I0+0], v42 // pack two half Vgpr to one Vgpr
_v_lshl_or_b32 v[vgprValuB_X0_I0+0], v53, 0x8, v[vgprValuB_X0_I0+0] // pack two int8 Vgpr to one half Vgpr
_v_lshl_or_b32 v54, v55, 0x8, v54                  // pack two int8 Vgpr to one half Vgpr
v_or_b32 v[vgprValuB_X0_I0+0], v[vgprValuB_X0_I0+0], v54 // pack two half Vgpr to one Vgpr
_v_lshl_or_b32 v[vgprValuA_X0_I0+1], v44, 0x8, v[vgprValuA_X0_I0+1] // pack two int8 Vgpr to one half Vgpr
_v_lshl_or_b32 v45, v46, 0x8, v45                  // pack two int8 Vgpr to one half Vgpr
v_or_b32 v[vgprValuA_X0_I0+1], v[vgprValuA_X0_I0+1], v45 // pack two half Vgpr to one Vgpr
v_mfma_i32_32x32x8i8 a[0+0:15+0], v[vgprValuA_X0_I0+0+0+0], v[vgprValuB_X0_I0+0+0+0], a[0:15]
/*  mfmaIndex:1  */
_ds_load_u8 v[vgprValuA_X1_I0+0], v[vgprLocalReadAddrA] offset:2048 // L -> Reg lro=2048 swapByteOffset=0 ti=256 vIdx=0 rIdx=0 oIdx=0 buffer=1 iui=0
_ds_load_u8 v65, v[vgprLocalReadAddrA] offset:2304 // L -> Reg lro=2048 swapByteOffset=0 ti=256 vIdx=0 rIdx=1 oIdx=0 buffer=1 iui=0
_ds_load_u8_d16_hi v66, v[vgprLocalReadAddrA] offset:2560 // L -> Reg lro=2048 swapByteOffset=0 ti=256 vIdx=0 rIdx=2 oIdx=0 buffer=1 iui=0
_ds_load_u8_d16_hi v67, v[vgprLocalReadAddrA] offset:2816 // L -> Reg lro=2048 swapByteOffset=0 ti=256 vIdx=0 rIdx=3 oIdx=0 buffer=1 iui=0
_ds_load_u8 v[vgprValuB_X1_I0+0], v[vgprLocalReadAddrB] offset:2048 // L -> Reg lro=2048 swapByteOffset=0 ti=256 vIdx=0 rIdx=0 oIdx=0 buffer=1 iui=0
_ds_load_u8 v77, v[vgprLocalReadAddrB] offset:2304 // L -> Reg lro=2048 swapByteOffset=0 ti=256 vIdx=0 rIdx=1 oIdx=0 buffer=1 iui=0
_buffer_load_b128 v[vgprG2LA+4:vgprG2LA+4+3], v[vgprGlobalReadOffsetA+1], s[sgprSrdA:sgprSrdA+3], 0, offen offset:0 // G -> Reg 0_0_1_0
/* pack scheduling: packAIdx:6, packBIdx:3 */
_v_lshl_or_b32 v[vgprValuA_X0_I0+2], v47, 0x8, v[vgprValuA_X0_I0+2] // pack two int8 Vgpr to one half Vgpr
_v_lshl_or_b32 v48, v49, 0x8, v48                  // pack two int8 Vgpr to one half Vgpr
v_or_b32 v[vgprValuA_X0_I0+2], v[vgprValuA_X0_I0+2], v48 // pack two half Vgpr to one Vgpr
_v_lshl_or_b32 v[vgprValuA_X0_I0+3], v50, 0x8, v[vgprValuA_X0_I0+3] // pack two int8 Vgpr to one half Vgpr
_v_lshl_or_b32 v51, v52, 0x8, v51                  // pack two int8 Vgpr to one half Vgpr
v_or_b32 v[vgprValuA_X0_I0+3], v[vgprValuA_X0_I0+3], v51 // pack two half Vgpr to one Vgpr
v_mfma_i32_32x32x8i8 a[16+0:31+0], v[vgprValuA_X0_I0+1+0+0], v[vgprValuB_X0_I0+0+0+0], a[16:31]
/*  mfmaIndex:2  */
_ds_load_u8_d16_hi v78, v[vgprLocalReadAddrB] offset:2560 // L -> Reg lro=2048 swapByteOffset=0 ti=256 vIdx=0 rIdx=2 oIdx=0 buffer=1 iui=0
_ds_load_u8_d16_hi v79, v[vgprLocalReadAddrB] offset:2816 // L -> Reg lro=2048 swapByteOffset=0 ti=256 vIdx=0 rIdx=3 oIdx=0 buffer=1 iui=0
_ds_load_u8 v[vgprValuA_X1_I0+1], v[vgprLocalReadAddrA] offset:2049 // L -> Reg lro=2048 swapByteOffset=0 ti=256 vIdx=0 rIdx=0 oIdx=0 buffer=1 iui=0
_ds_load_u8 v68, v[vgprLocalReadAddrA] offset:2305 // L -> Reg lro=2048 swapByteOffset=0 ti=256 vIdx=0 rIdx=1 oIdx=0 buffer=1 iui=0
_ds_load_u8_d16_hi v69, v[vgprLocalReadAddrA] offset:2561 // L -> Reg lro=2048 swapByteOffset=0 ti=256 vIdx=0 rIdx=2 oIdx=0 buffer=1 iui=0
_ds_load_u8_d16_hi v70, v[vgprLocalReadAddrA] offset:2817 // L -> Reg lro=2048 swapByteOffset=0 ti=256 vIdx=0 rIdx=3 oIdx=0 buffer=1 iui=0
_buffer_load_b128 v[vgprG2LB+0:vgprG2LB+0+3], v[vgprGlobalReadOffsetB+0], s[sgprSrdB:sgprSrdB+3], 0, offen offset:0 // G -> Reg 0_0_0_0
/* pack scheduling: packAIdx:9, packBIdx:3 */
_v_lshl_or_b32 v[vgprValuB_X0_I0+1], v56, 0x8, v[vgprValuB_X0_I0+1] // pack two int8 Vgpr to one half Vgpr
_v_lshl_or_b32 v57, v58, 0x8, v57                  // pack two int8 Vgpr to one half Vgpr
v_or_b32 v[vgprValuB_X0_I0+1], v[vgprValuB_X0_I0+1], v57 // pack two half Vgpr to one Vgpr
_v_lshl_or_b32 v[vgprValuB_X0_I0+2], v59, 0x8, v[vgprValuB_X0_I0+2] // pack two int8 Vgpr to one half Vgpr
_v_lshl_or_b32 v60, v61, 0x8, v60                  // pack two int8 Vgpr to one half Vgpr
v_or_b32 v[vgprValuB_X0_I0+2], v[vgprValuB_X0_I0+2], v60 // pack two half Vgpr to one Vgpr
v_mfma_i32_32x32x8i8 a[32+0:47+0], v[vgprValuA_X0_I0+2+0+0], v[vgprValuB_X0_I0+0+0+0], a[32:47]
/*  mfmaIndex:3  */
_ds_load_u8 v[vgprValuA_X1_I0+2], v[vgprLocalReadAddrA] offset:2050 // L -> Reg lro=2048 swapByteOffset=0 ti=256 vIdx=0 rIdx=0 oIdx=0 buffer=1 iui=0
_ds_load_u8 v71, v[vgprLocalReadAddrA] offset:2306 // L -> Reg lro=2048 swapByteOffset=0 ti=256 vIdx=0 rIdx=1 oIdx=0 buffer=1 iui=0
_ds_load_u8_d16_hi v72, v[vgprLocalReadAddrA] offset:2562 // L -> Reg lro=2048 swapByteOffset=0 ti=256 vIdx=0 rIdx=2 oIdx=0 buffer=1 iui=0
_ds_load_u8_d16_hi v73, v[vgprLocalReadAddrA] offset:2818 // L -> Reg lro=2048 swapByteOffset=0 ti=256 vIdx=0 rIdx=3 oIdx=0 buffer=1 iui=0
_ds_load_u8 v[vgprValuA_X1_I0+3], v[vgprLocalReadAddrA] offset:2051 // L -> Reg lro=2048 swapByteOffset=0 ti=256 vIdx=0 rIdx=0 oIdx=0 buffer=1 iui=0
_ds_load_u8 v74, v[vgprLocalReadAddrA] offset:2307 // L -> Reg lro=2048 swapByteOffset=0 ti=256 vIdx=0 rIdx=1 oIdx=0 buffer=1 iui=0
_buffer_load_b128 v[vgprG2LB+4:vgprG2LB+4+3], v[vgprGlobalReadOffsetB+1], s[sgprSrdB:sgprSrdB+3], 0, offen offset:0 // G -> Reg 0_0_1_0
/* pack scheduling: packAIdx:12, packBIdx:3 */
_v_lshl_or_b32 v[vgprValuB_X0_I0+3], v62, 0x8, v[vgprValuB_X0_I0+3] // pack two int8 Vgpr to one half Vgpr
_v_lshl_or_b32 v63, v64, 0x8, v63                  // pack two int8 Vgpr to one half Vgpr
v_or_b32 v[vgprValuB_X0_I0+3], v[vgprValuB_X0_I0+3], v63 // pack two half Vgpr to one Vgpr
v_mfma_i32_32x32x8i8 a[48+0:63+0], v[vgprValuA_X0_I0+3+0+0], v[vgprValuB_X0_I0+0+0+0], a[48:63]
/*  mfmaIndex:4  */
_ds_load_u8_d16_hi v75, v[vgprLocalReadAddrA] offset:2563 // L -> Reg lro=2048 swapByteOffset=0 ti=256 vIdx=0 rIdx=2 oIdx=0 buffer=1 iui=0
_ds_load_u8_d16_hi v76, v[vgprLocalReadAddrA] offset:2819 // L -> Reg lro=2048 swapByteOffset=0 ti=256 vIdx=0 rIdx=3 oIdx=0 buffer=1 iui=0
_ds_load_u8 v[vgprValuB_X1_I0+1], v[vgprLocalReadAddrB] offset:2049 // L -> Reg lro=2048 swapByteOffset=0 ti=256 vIdx=0 rIdx=0 oIdx=0 buffer=1 iui=0
_ds_load_u8 v80, v[vgprLocalReadAddrB] offset:2305 // L -> Reg lro=2048 swapByteOffset=0 ti=256 vIdx=0 rIdx=1 oIdx=0 buffer=1 iui=0
_ds_load_u8_d16_hi v81, v[vgprLocalReadAddrB] offset:2561 // L -> Reg lro=2048 swapByteOffset=0 ti=256 vIdx=0 rIdx=2 oIdx=0 buffer=1 iui=0
_ds_load_u8_d16_hi v82, v[vgprLocalReadAddrB] offset:2817 // L -> Reg lro=2048 swapByteOffset=0 ti=256 vIdx=0 rIdx=3 oIdx=0 buffer=1 iui=0

/* global read inc A loopL */
s_add_u32 s[sgprSrdA+0], s[sgprSrdA+0], s[sgprGlobalReadIncsA+0] // gra SRD += inc(lower)
s_addc_u32  s[sgprSrdA+1], s[sgprSrdA+1], 0        // gra SRD += inc(upper)
s_sub_u32 s[sgprShadowLimitA+0], s[sgprShadowLimitA+0], s[sgprGlobalReadIncsA+0] // limit -= inc)
s_subb_u32 s[sgprShadowLimitA+1], s[sgprShadowLimitA+1], 0 // limit -= inc)
s_cmp_eq_u32 s[sgprShadowLimitA+1], 0              // are we within 2^32?
s_cmov_b32 s[sgprSrdA+2], s[sgprShadowLimitA+0]    // Move shadow to real if we are within 2^32

/* global read inc B loopL */
s_add_u32 s[sgprSrdB+0], s[sgprSrdB+0], s[sgprGlobalReadIncsB+0] // gra SRD += inc(lower)
v_mfma_i32_32x32x8i8 a[112+0:127+0], v[vgprValuA_X0_I0+3+0+0], v[vgprValuB_X0_I0+1+0+0], a[112:127]
/*  mfmaIndex:5  */
_ds_load_u8 v[vgprValuB_X1_I0+2], v[vgprLocalReadAddrB] offset:2050 // L -> Reg lro=2048 swapByteOffset=0 ti=256 vIdx=0 rIdx=0 oIdx=0 buffer=1 iui=0
_ds_load_u8 v83, v[vgprLocalReadAddrB] offset:2306 // L -> Reg lro=2048 swapByteOffset=0 ti=256 vIdx=0 rIdx=1 oIdx=0 buffer=1 iui=0
_ds_load_u8_d16_hi v84, v[vgprLocalReadAddrB] offset:2562 // L -> Reg lro=2048 swapByteOffset=0 ti=256 vIdx=0 rIdx=2 oIdx=0 buffer=1 iui=0
_ds_load_u8_d16_hi v85, v[vgprLocalReadAddrB] offset:2818 // L -> Reg lro=2048 swapByteOffset=0 ti=256 vIdx=0 rIdx=3 oIdx=0 buffer=1 iui=0
_ds_load_u8 v[vgprValuB_X1_I0+3], v[vgprLocalReadAddrB] offset:2051 // L -> Reg lro=2048 swapByteOffset=0 ti=256 vIdx=0 rIdx=0 oIdx=0 buffer=1 iui=0
_ds_load_u8 v86, v[vgprLocalReadAddrB] offset:2307 // L -> Reg lro=2048 swapByteOffset=0 ti=256 vIdx=0 rIdx=1 oIdx=0 buffer=1 iui=0
s_addc_u32  s[sgprSrdB+1], s[sgprSrdB+1], 0        // gra SRD += inc(upper)
s_sub_u32 s[sgprShadowLimitB+0], s[sgprShadowLimitB+0], s[sgprGlobalReadIncsB+0] // limit -= inc)
s_subb_u32 s[sgprShadowLimitB+1], s[sgprShadowLimitB+1], 0 // limit -= inc)
s_cmp_eq_u32 s[sgprShadowLimitB+1], 0              // are we within 2^32?
s_cmov_b32 s[sgprSrdB+2], s[sgprShadowLimitB+0]    // Move shadow to real if we are within 2^32
v_mfma_i32_32x32x8i8 a[96+0:111+0], v[vgprValuA_X0_I0+2+0+0], v[vgprValuB_X0_I0+1+0+0], a[96:111]
/*  mfmaIndex:6  */
_ds_load_u8_d16_hi v87, v[vgprLocalReadAddrB] offset:2563 // L -> Reg lro=2048 swapByteOffset=0 ti=256 vIdx=0 rIdx=2 oIdx=0 buffer=1 iui=0
_ds_load_u8_d16_hi v88, v[vgprLocalReadAddrB] offset:2819 // L -> Reg lro=2048 swapByteOffset=0 ti=256 vIdx=0 rIdx=3 oIdx=0 buffer=1 iui=0
/* localReadsVacancy: latencyLeft 9 */
v_mfma_i32_32x32x8i8 a[80+0:95+0], v[vgprValuA_X0_I0+1+0+0], v[vgprValuB_X0_I0+1+0+0], a[80:95]
/*  mfmaIndex:7  */
/* localReadsVacancy: latencyLeft 13 */
v_mfma_i32_32x32x8i8 a[64+0:79+0], v[vgprValuA_X0_I0+0+0+0], v[vgprValuB_X0_I0+1+0+0], a[64:79]
/*  mfmaIndex:8  */
	;; [unrolled: 3-line block ×9, first 2 shown]
/* localReadsVacancy: latencyLeft 13 */
v_mfma_i32_32x32x8i8 a[192+0:207+0], v[vgprValuA_X0_I0+0+0+0], v[vgprValuB_X0_I0+3+0+0], a[192:207]
/* numPrefetchIter=0 */
/* dataAtIterA=-1 numReadsIterA=1 skipReadsIterA=1 readsPerIterA=16 */
/* dataAtIterB=-1 numReadsIterB=1 skipReadsIterB=1 readsPerIterB=16 */


/* iter 1 */

/*  grEndMfmaIndex:3, lwStartMfmaIndex:52, lwEndMfmaIndex:55  */
/*  numMfmaForLR:6, barrierMfmaIndex:57 */
/*  mfmaIndex:16  */
_ds_load_u8 v[vgprValuA_X0_I0+0], v[vgprLocalReadAddrA] offset:4096 // L -> Reg lro=4096 swapByteOffset=0 ti=256 vIdx=0 rIdx=0 oIdx=0 buffer=0 iui=0
_ds_load_u8 v41, v[vgprLocalReadAddrA] offset:4352 // L -> Reg lro=4096 swapByteOffset=0 ti=256 vIdx=0 rIdx=1 oIdx=0 buffer=0 iui=0
_ds_load_u8_d16_hi v42, v[vgprLocalReadAddrA] offset:4608 // L -> Reg lro=4096 swapByteOffset=0 ti=256 vIdx=0 rIdx=2 oIdx=0 buffer=0 iui=0
_ds_load_u8_d16_hi v43, v[vgprLocalReadAddrA] offset:4864 // L -> Reg lro=4096 swapByteOffset=0 ti=256 vIdx=0 rIdx=3 oIdx=0 buffer=0 iui=0
_ds_load_u8 v[vgprValuB_X0_I0+0], v[vgprLocalReadAddrB] offset:4096 // L -> Reg lro=4096 swapByteOffset=0 ti=256 vIdx=0 rIdx=0 oIdx=0 buffer=0 iui=0
_ds_load_u8 v53, v[vgprLocalReadAddrB] offset:4352 // L -> Reg lro=4096 swapByteOffset=0 ti=256 vIdx=0 rIdx=1 oIdx=0 buffer=0 iui=0
s_waitcnt lgkmcnt(6)                               // lgkmcnt=0 vmcnt=-1wait for prior local read local write old=0, new=6 newLW=0 newLR=6
/* pack scheduling: packAIdx:3, packBIdx:3 */
_v_lshl_or_b32 v[vgprValuA_X1_I0+0], v65, 0x8, v[vgprValuA_X1_I0+0] // pack two int8 Vgpr to one half Vgpr
_v_lshl_or_b32 v66, v67, 0x8, v66                  // pack two int8 Vgpr to one half Vgpr
v_or_b32 v[vgprValuA_X1_I0+0], v[vgprValuA_X1_I0+0], v66 // pack two half Vgpr to one Vgpr
_v_lshl_or_b32 v[vgprValuB_X1_I0+0], v77, 0x8, v[vgprValuB_X1_I0+0] // pack two int8 Vgpr to one half Vgpr
_v_lshl_or_b32 v78, v79, 0x8, v78                  // pack two int8 Vgpr to one half Vgpr
v_or_b32 v[vgprValuB_X1_I0+0], v[vgprValuB_X1_I0+0], v78 // pack two half Vgpr to one Vgpr
_v_lshl_or_b32 v[vgprValuA_X1_I0+1], v68, 0x8, v[vgprValuA_X1_I0+1] // pack two int8 Vgpr to one half Vgpr
_v_lshl_or_b32 v69, v70, 0x8, v69                  // pack two int8 Vgpr to one half Vgpr
v_or_b32 v[vgprValuA_X1_I0+1], v[vgprValuA_X1_I0+1], v69 // pack two half Vgpr to one Vgpr
v_mfma_i32_32x32x8i8 a[0+0:15+0], v[vgprValuA_X1_I0+0+0+0], v[vgprValuB_X1_I0+0+0+0], a[0:15]
/*  mfmaIndex:17  */
_ds_load_u8_d16_hi v54, v[vgprLocalReadAddrB] offset:4608 // L -> Reg lro=4096 swapByteOffset=0 ti=256 vIdx=0 rIdx=2 oIdx=0 buffer=0 iui=0
_ds_load_u8_d16_hi v55, v[vgprLocalReadAddrB] offset:4864 // L -> Reg lro=4096 swapByteOffset=0 ti=256 vIdx=0 rIdx=3 oIdx=0 buffer=0 iui=0
_ds_load_u8 v[vgprValuA_X0_I0+1], v[vgprLocalReadAddrA] offset:4097 // L -> Reg lro=4096 swapByteOffset=0 ti=256 vIdx=0 rIdx=0 oIdx=0 buffer=0 iui=0
_ds_load_u8 v44, v[vgprLocalReadAddrA] offset:4353 // L -> Reg lro=4096 swapByteOffset=0 ti=256 vIdx=0 rIdx=1 oIdx=0 buffer=0 iui=0
_ds_load_u8_d16_hi v45, v[vgprLocalReadAddrA] offset:4609 // L -> Reg lro=4096 swapByteOffset=0 ti=256 vIdx=0 rIdx=2 oIdx=0 buffer=0 iui=0
_ds_load_u8_d16_hi v46, v[vgprLocalReadAddrA] offset:4865 // L -> Reg lro=4096 swapByteOffset=0 ti=256 vIdx=0 rIdx=3 oIdx=0 buffer=0 iui=0
/* pack scheduling: packAIdx:6, packBIdx:3 */
_v_lshl_or_b32 v[vgprValuA_X1_I0+2], v71, 0x8, v[vgprValuA_X1_I0+2] // pack two int8 Vgpr to one half Vgpr
_v_lshl_or_b32 v72, v73, 0x8, v72                  // pack two int8 Vgpr to one half Vgpr
v_or_b32 v[vgprValuA_X1_I0+2], v[vgprValuA_X1_I0+2], v72 // pack two half Vgpr to one Vgpr
_v_lshl_or_b32 v[vgprValuA_X1_I0+3], v74, 0x8, v[vgprValuA_X1_I0+3] // pack two int8 Vgpr to one half Vgpr
_v_lshl_or_b32 v75, v76, 0x8, v75                  // pack two int8 Vgpr to one half Vgpr
v_or_b32 v[vgprValuA_X1_I0+3], v[vgprValuA_X1_I0+3], v75 // pack two half Vgpr to one Vgpr
v_mfma_i32_32x32x8i8 a[16+0:31+0], v[vgprValuA_X1_I0+1+0+0], v[vgprValuB_X1_I0+0+0+0], a[16:31]
/*  mfmaIndex:18  */
_ds_load_u8 v[vgprValuA_X0_I0+2], v[vgprLocalReadAddrA] offset:4098 // L -> Reg lro=4096 swapByteOffset=0 ti=256 vIdx=0 rIdx=0 oIdx=0 buffer=0 iui=0
_ds_load_u8 v47, v[vgprLocalReadAddrA] offset:4354 // L -> Reg lro=4096 swapByteOffset=0 ti=256 vIdx=0 rIdx=1 oIdx=0 buffer=0 iui=0
_ds_load_u8_d16_hi v48, v[vgprLocalReadAddrA] offset:4610 // L -> Reg lro=4096 swapByteOffset=0 ti=256 vIdx=0 rIdx=2 oIdx=0 buffer=0 iui=0
_ds_load_u8_d16_hi v49, v[vgprLocalReadAddrA] offset:4866 // L -> Reg lro=4096 swapByteOffset=0 ti=256 vIdx=0 rIdx=3 oIdx=0 buffer=0 iui=0
_ds_load_u8 v[vgprValuA_X0_I0+3], v[vgprLocalReadAddrA] offset:4099 // L -> Reg lro=4096 swapByteOffset=0 ti=256 vIdx=0 rIdx=0 oIdx=0 buffer=0 iui=0
_ds_load_u8 v50, v[vgprLocalReadAddrA] offset:4355 // L -> Reg lro=4096 swapByteOffset=0 ti=256 vIdx=0 rIdx=1 oIdx=0 buffer=0 iui=0
/* pack scheduling: packAIdx:9, packBIdx:3 */
_v_lshl_or_b32 v[vgprValuB_X1_I0+1], v80, 0x8, v[vgprValuB_X1_I0+1] // pack two int8 Vgpr to one half Vgpr
_v_lshl_or_b32 v81, v82, 0x8, v81                  // pack two int8 Vgpr to one half Vgpr
v_or_b32 v[vgprValuB_X1_I0+1], v[vgprValuB_X1_I0+1], v81 // pack two half Vgpr to one Vgpr
_v_lshl_or_b32 v[vgprValuB_X1_I0+2], v83, 0x8, v[vgprValuB_X1_I0+2] // pack two int8 Vgpr to one half Vgpr
_v_lshl_or_b32 v84, v85, 0x8, v84                  // pack two int8 Vgpr to one half Vgpr
v_or_b32 v[vgprValuB_X1_I0+2], v[vgprValuB_X1_I0+2], v84 // pack two half Vgpr to one Vgpr
v_mfma_i32_32x32x8i8 a[32+0:47+0], v[vgprValuA_X1_I0+2+0+0], v[vgprValuB_X1_I0+0+0+0], a[32:47]
/*  mfmaIndex:19  */
_ds_load_u8_d16_hi v51, v[vgprLocalReadAddrA] offset:4611 // L -> Reg lro=4096 swapByteOffset=0 ti=256 vIdx=0 rIdx=2 oIdx=0 buffer=0 iui=0
_ds_load_u8_d16_hi v52, v[vgprLocalReadAddrA] offset:4867 // L -> Reg lro=4096 swapByteOffset=0 ti=256 vIdx=0 rIdx=3 oIdx=0 buffer=0 iui=0
_ds_load_u8 v[vgprValuB_X0_I0+1], v[vgprLocalReadAddrB] offset:4097 // L -> Reg lro=4096 swapByteOffset=0 ti=256 vIdx=0 rIdx=0 oIdx=0 buffer=0 iui=0
_ds_load_u8 v56, v[vgprLocalReadAddrB] offset:4353 // L -> Reg lro=4096 swapByteOffset=0 ti=256 vIdx=0 rIdx=1 oIdx=0 buffer=0 iui=0
_ds_load_u8_d16_hi v57, v[vgprLocalReadAddrB] offset:4609 // L -> Reg lro=4096 swapByteOffset=0 ti=256 vIdx=0 rIdx=2 oIdx=0 buffer=0 iui=0
_ds_load_u8_d16_hi v58, v[vgprLocalReadAddrB] offset:4865 // L -> Reg lro=4096 swapByteOffset=0 ti=256 vIdx=0 rIdx=3 oIdx=0 buffer=0 iui=0
/* pack scheduling: packAIdx:12, packBIdx:3 */
_v_lshl_or_b32 v[vgprValuB_X1_I0+3], v86, 0x8, v[vgprValuB_X1_I0+3] // pack two int8 Vgpr to one half Vgpr
_v_lshl_or_b32 v87, v88, 0x8, v87                  // pack two int8 Vgpr to one half Vgpr
v_or_b32 v[vgprValuB_X1_I0+3], v[vgprValuB_X1_I0+3], v87 // pack two half Vgpr to one Vgpr
v_mfma_i32_32x32x8i8 a[48+0:63+0], v[vgprValuA_X1_I0+3+0+0], v[vgprValuB_X1_I0+0+0+0], a[48:63]
/*  mfmaIndex:20  */
_ds_load_u8 v[vgprValuB_X0_I0+2], v[vgprLocalReadAddrB] offset:4098 // L -> Reg lro=4096 swapByteOffset=0 ti=256 vIdx=0 rIdx=0 oIdx=0 buffer=0 iui=0
_ds_load_u8 v59, v[vgprLocalReadAddrB] offset:4354 // L -> Reg lro=4096 swapByteOffset=0 ti=256 vIdx=0 rIdx=1 oIdx=0 buffer=0 iui=0
_ds_load_u8_d16_hi v60, v[vgprLocalReadAddrB] offset:4610 // L -> Reg lro=4096 swapByteOffset=0 ti=256 vIdx=0 rIdx=2 oIdx=0 buffer=0 iui=0
_ds_load_u8_d16_hi v61, v[vgprLocalReadAddrB] offset:4866 // L -> Reg lro=4096 swapByteOffset=0 ti=256 vIdx=0 rIdx=3 oIdx=0 buffer=0 iui=0
_ds_load_u8 v[vgprValuB_X0_I0+3], v[vgprLocalReadAddrB] offset:4099 // L -> Reg lro=4096 swapByteOffset=0 ti=256 vIdx=0 rIdx=0 oIdx=0 buffer=0 iui=0
_ds_load_u8 v62, v[vgprLocalReadAddrB] offset:4355 // L -> Reg lro=4096 swapByteOffset=0 ti=256 vIdx=0 rIdx=1 oIdx=0 buffer=0 iui=0
v_mfma_i32_32x32x8i8 a[112+0:127+0], v[vgprValuA_X1_I0+3+0+0], v[vgprValuB_X1_I0+1+0+0], a[112:127]
/*  mfmaIndex:21  */
_ds_load_u8_d16_hi v63, v[vgprLocalReadAddrB] offset:4611 // L -> Reg lro=4096 swapByteOffset=0 ti=256 vIdx=0 rIdx=2 oIdx=0 buffer=0 iui=0
_ds_load_u8_d16_hi v64, v[vgprLocalReadAddrB] offset:4867 // L -> Reg lro=4096 swapByteOffset=0 ti=256 vIdx=0 rIdx=3 oIdx=0 buffer=0 iui=0
/* localReadsVacancy: latencyLeft 9 */
v_mfma_i32_32x32x8i8 a[96+0:111+0], v[vgprValuA_X1_I0+2+0+0], v[vgprValuB_X1_I0+1+0+0], a[96:111]
/*  mfmaIndex:22  */
/* localReadsVacancy: latencyLeft 13 */
v_mfma_i32_32x32x8i8 a[80+0:95+0], v[vgprValuA_X1_I0+1+0+0], v[vgprValuB_X1_I0+1+0+0], a[80:95]
/*  mfmaIndex:23  */
	;; [unrolled: 3-line block ×10, first 2 shown]
/* localReadsVacancy: latencyLeft 13 */
v_mfma_i32_32x32x8i8 a[192+0:207+0], v[vgprValuA_X1_I0+0+0+0], v[vgprValuB_X1_I0+3+0+0], a[192:207]
/* numPrefetchIter=0 */
/* dataAtIterA=0 numReadsIterA=2 skipReadsIterA=1 readsPerIterA=16 */
/* dataAtIterB=0 numReadsIterB=2 skipReadsIterB=1 readsPerIterB=16 */


/* iter 2 (reset local read pointers iteration)  (swap local read pointers iteration)  */

/*  grEndMfmaIndex:3, lwStartMfmaIndex:52, lwEndMfmaIndex:55  */
/*  numMfmaForLR:6, barrierMfmaIndex:57 */
/*  mfmaIndex:32  */
_ds_load_u8 v[vgprValuA_X1_I0+0], v[vgprLocalReadAddrA] offset:6144 // L -> Reg lro=6144 swapByteOffset=0 ti=256 vIdx=0 rIdx=0 oIdx=0 buffer=1 iui=0
_ds_load_u8 v65, v[vgprLocalReadAddrA] offset:6400 // L -> Reg lro=6144 swapByteOffset=0 ti=256 vIdx=0 rIdx=1 oIdx=0 buffer=1 iui=0
_ds_load_u8_d16_hi v66, v[vgprLocalReadAddrA] offset:6656 // L -> Reg lro=6144 swapByteOffset=0 ti=256 vIdx=0 rIdx=2 oIdx=0 buffer=1 iui=0
_ds_load_u8_d16_hi v67, v[vgprLocalReadAddrA] offset:6912 // L -> Reg lro=6144 swapByteOffset=0 ti=256 vIdx=0 rIdx=3 oIdx=0 buffer=1 iui=0
_ds_load_u8 v[vgprValuB_X1_I0+0], v[vgprLocalReadAddrB] offset:6144 // L -> Reg lro=6144 swapByteOffset=0 ti=256 vIdx=0 rIdx=0 oIdx=0 buffer=1 iui=0
_ds_load_u8 v77, v[vgprLocalReadAddrB] offset:6400 // L -> Reg lro=6144 swapByteOffset=0 ti=256 vIdx=0 rIdx=1 oIdx=0 buffer=1 iui=0
s_waitcnt lgkmcnt(6)                               // lgkmcnt=0 vmcnt=-1wait for prior local read local write old=0, new=6 newLW=0 newLR=6
/* pack scheduling: packAIdx:3, packBIdx:3 */
_v_lshl_or_b32 v[vgprValuA_X0_I0+0], v41, 0x8, v[vgprValuA_X0_I0+0] // pack two int8 Vgpr to one half Vgpr
_v_lshl_or_b32 v42, v43, 0x8, v42                  // pack two int8 Vgpr to one half Vgpr
v_or_b32 v[vgprValuA_X0_I0+0], v[vgprValuA_X0_I0+0], v42 // pack two half Vgpr to one Vgpr
_v_lshl_or_b32 v[vgprValuB_X0_I0+0], v53, 0x8, v[vgprValuB_X0_I0+0] // pack two int8 Vgpr to one half Vgpr
_v_lshl_or_b32 v54, v55, 0x8, v54                  // pack two int8 Vgpr to one half Vgpr
v_or_b32 v[vgprValuB_X0_I0+0], v[vgprValuB_X0_I0+0], v54 // pack two half Vgpr to one Vgpr
_v_lshl_or_b32 v[vgprValuA_X0_I0+1], v44, 0x8, v[vgprValuA_X0_I0+1] // pack two int8 Vgpr to one half Vgpr
_v_lshl_or_b32 v45, v46, 0x8, v45                  // pack two int8 Vgpr to one half Vgpr
v_or_b32 v[vgprValuA_X0_I0+1], v[vgprValuA_X0_I0+1], v45 // pack two half Vgpr to one Vgpr
v_mfma_i32_32x32x8i8 a[0+0:15+0], v[vgprValuA_X0_I0+0+0+0], v[vgprValuB_X0_I0+0+0+0], a[0:15]
/*  mfmaIndex:33  */
_ds_load_u8_d16_hi v78, v[vgprLocalReadAddrB] offset:6656 // L -> Reg lro=6144 swapByteOffset=0 ti=256 vIdx=0 rIdx=2 oIdx=0 buffer=1 iui=0
_ds_load_u8_d16_hi v79, v[vgprLocalReadAddrB] offset:6912 // L -> Reg lro=6144 swapByteOffset=0 ti=256 vIdx=0 rIdx=3 oIdx=0 buffer=1 iui=0
_ds_load_u8 v[vgprValuA_X1_I0+1], v[vgprLocalReadAddrA] offset:6145 // L -> Reg lro=6144 swapByteOffset=0 ti=256 vIdx=0 rIdx=0 oIdx=0 buffer=1 iui=0
_ds_load_u8 v68, v[vgprLocalReadAddrA] offset:6401 // L -> Reg lro=6144 swapByteOffset=0 ti=256 vIdx=0 rIdx=1 oIdx=0 buffer=1 iui=0
_ds_load_u8_d16_hi v69, v[vgprLocalReadAddrA] offset:6657 // L -> Reg lro=6144 swapByteOffset=0 ti=256 vIdx=0 rIdx=2 oIdx=0 buffer=1 iui=0
_ds_load_u8_d16_hi v70, v[vgprLocalReadAddrA] offset:6913 // L -> Reg lro=6144 swapByteOffset=0 ti=256 vIdx=0 rIdx=3 oIdx=0 buffer=1 iui=0
/* pack scheduling: packAIdx:6, packBIdx:3 */
_v_lshl_or_b32 v[vgprValuA_X0_I0+2], v47, 0x8, v[vgprValuA_X0_I0+2] // pack two int8 Vgpr to one half Vgpr
_v_lshl_or_b32 v48, v49, 0x8, v48                  // pack two int8 Vgpr to one half Vgpr
v_or_b32 v[vgprValuA_X0_I0+2], v[vgprValuA_X0_I0+2], v48 // pack two half Vgpr to one Vgpr
_v_lshl_or_b32 v[vgprValuA_X0_I0+3], v50, 0x8, v[vgprValuA_X0_I0+3] // pack two int8 Vgpr to one half Vgpr
_v_lshl_or_b32 v51, v52, 0x8, v51                  // pack two int8 Vgpr to one half Vgpr
v_or_b32 v[vgprValuA_X0_I0+3], v[vgprValuA_X0_I0+3], v51 // pack two half Vgpr to one Vgpr
v_mfma_i32_32x32x8i8 a[16+0:31+0], v[vgprValuA_X0_I0+1+0+0], v[vgprValuB_X0_I0+0+0+0], a[16:31]
/*  mfmaIndex:34  */
_ds_load_u8 v[vgprValuA_X1_I0+2], v[vgprLocalReadAddrA] offset:6146 // L -> Reg lro=6144 swapByteOffset=0 ti=256 vIdx=0 rIdx=0 oIdx=0 buffer=1 iui=0
_ds_load_u8 v71, v[vgprLocalReadAddrA] offset:6402 // L -> Reg lro=6144 swapByteOffset=0 ti=256 vIdx=0 rIdx=1 oIdx=0 buffer=1 iui=0
_ds_load_u8_d16_hi v72, v[vgprLocalReadAddrA] offset:6658 // L -> Reg lro=6144 swapByteOffset=0 ti=256 vIdx=0 rIdx=2 oIdx=0 buffer=1 iui=0
_ds_load_u8_d16_hi v73, v[vgprLocalReadAddrA] offset:6914 // L -> Reg lro=6144 swapByteOffset=0 ti=256 vIdx=0 rIdx=3 oIdx=0 buffer=1 iui=0
_ds_load_u8 v[vgprValuA_X1_I0+3], v[vgprLocalReadAddrA] offset:6147 // L -> Reg lro=6144 swapByteOffset=0 ti=256 vIdx=0 rIdx=0 oIdx=0 buffer=1 iui=0
_ds_load_u8 v74, v[vgprLocalReadAddrA] offset:6403 // L -> Reg lro=6144 swapByteOffset=0 ti=256 vIdx=0 rIdx=1 oIdx=0 buffer=1 iui=0
/* pack scheduling: packAIdx:9, packBIdx:3 */
_v_lshl_or_b32 v[vgprValuB_X0_I0+1], v56, 0x8, v[vgprValuB_X0_I0+1] // pack two int8 Vgpr to one half Vgpr
_v_lshl_or_b32 v57, v58, 0x8, v57                  // pack two int8 Vgpr to one half Vgpr
v_or_b32 v[vgprValuB_X0_I0+1], v[vgprValuB_X0_I0+1], v57 // pack two half Vgpr to one Vgpr
_v_lshl_or_b32 v[vgprValuB_X0_I0+2], v59, 0x8, v[vgprValuB_X0_I0+2] // pack two int8 Vgpr to one half Vgpr
_v_lshl_or_b32 v60, v61, 0x8, v60                  // pack two int8 Vgpr to one half Vgpr
v_or_b32 v[vgprValuB_X0_I0+2], v[vgprValuB_X0_I0+2], v60 // pack two half Vgpr to one Vgpr
v_mfma_i32_32x32x8i8 a[32+0:47+0], v[vgprValuA_X0_I0+2+0+0], v[vgprValuB_X0_I0+0+0+0], a[32:47]
/*  mfmaIndex:35  */
_ds_load_u8_d16_hi v75, v[vgprLocalReadAddrA] offset:6659 // L -> Reg lro=6144 swapByteOffset=0 ti=256 vIdx=0 rIdx=2 oIdx=0 buffer=1 iui=0
_ds_load_u8_d16_hi v76, v[vgprLocalReadAddrA] offset:6915 // L -> Reg lro=6144 swapByteOffset=0 ti=256 vIdx=0 rIdx=3 oIdx=0 buffer=1 iui=0
_ds_load_u8 v[vgprValuB_X1_I0+1], v[vgprLocalReadAddrB] offset:6145 // L -> Reg lro=6144 swapByteOffset=0 ti=256 vIdx=0 rIdx=0 oIdx=0 buffer=1 iui=0
_ds_load_u8 v80, v[vgprLocalReadAddrB] offset:6401 // L -> Reg lro=6144 swapByteOffset=0 ti=256 vIdx=0 rIdx=1 oIdx=0 buffer=1 iui=0
_ds_load_u8_d16_hi v81, v[vgprLocalReadAddrB] offset:6657 // L -> Reg lro=6144 swapByteOffset=0 ti=256 vIdx=0 rIdx=2 oIdx=0 buffer=1 iui=0
_ds_load_u8_d16_hi v82, v[vgprLocalReadAddrB] offset:6913 // L -> Reg lro=6144 swapByteOffset=0 ti=256 vIdx=0 rIdx=3 oIdx=0 buffer=1 iui=0
/* pack scheduling: packAIdx:12, packBIdx:3 */
_v_lshl_or_b32 v[vgprValuB_X0_I0+3], v62, 0x8, v[vgprValuB_X0_I0+3] // pack two int8 Vgpr to one half Vgpr
_v_lshl_or_b32 v63, v64, 0x8, v63                  // pack two int8 Vgpr to one half Vgpr
v_or_b32 v[vgprValuB_X0_I0+3], v[vgprValuB_X0_I0+3], v63 // pack two half Vgpr to one Vgpr
v_mfma_i32_32x32x8i8 a[48+0:63+0], v[vgprValuA_X0_I0+3+0+0], v[vgprValuB_X0_I0+0+0+0], a[48:63]
/*  mfmaIndex:36  */
_ds_load_u8 v[vgprValuB_X1_I0+2], v[vgprLocalReadAddrB] offset:6146 // L -> Reg lro=6144 swapByteOffset=0 ti=256 vIdx=0 rIdx=0 oIdx=0 buffer=1 iui=0
_ds_load_u8 v83, v[vgprLocalReadAddrB] offset:6402 // L -> Reg lro=6144 swapByteOffset=0 ti=256 vIdx=0 rIdx=1 oIdx=0 buffer=1 iui=0
_ds_load_u8_d16_hi v84, v[vgprLocalReadAddrB] offset:6658 // L -> Reg lro=6144 swapByteOffset=0 ti=256 vIdx=0 rIdx=2 oIdx=0 buffer=1 iui=0
_ds_load_u8_d16_hi v85, v[vgprLocalReadAddrB] offset:6914 // L -> Reg lro=6144 swapByteOffset=0 ti=256 vIdx=0 rIdx=3 oIdx=0 buffer=1 iui=0
_ds_load_u8 v[vgprValuB_X1_I0+3], v[vgprLocalReadAddrB] offset:6147 // L -> Reg lro=6144 swapByteOffset=0 ti=256 vIdx=0 rIdx=0 oIdx=0 buffer=1 iui=0
_ds_load_u8 v86, v[vgprLocalReadAddrB] offset:6403 // L -> Reg lro=6144 swapByteOffset=0 ti=256 vIdx=0 rIdx=1 oIdx=0 buffer=1 iui=0
v_mfma_i32_32x32x8i8 a[112+0:127+0], v[vgprValuA_X0_I0+3+0+0], v[vgprValuB_X0_I0+1+0+0], a[112:127]
/*  mfmaIndex:37  */
_ds_load_u8_d16_hi v87, v[vgprLocalReadAddrB] offset:6659 // L -> Reg lro=6144 swapByteOffset=0 ti=256 vIdx=0 rIdx=2 oIdx=0 buffer=1 iui=0
_ds_load_u8_d16_hi v88, v[vgprLocalReadAddrB] offset:6915 // L -> Reg lro=6144 swapByteOffset=0 ti=256 vIdx=0 rIdx=3 oIdx=0 buffer=1 iui=0
/* localReadsVacancy: latencyLeft 9 */
v_mfma_i32_32x32x8i8 a[96+0:111+0], v[vgprValuA_X0_I0+2+0+0], v[vgprValuB_X0_I0+1+0+0], a[96:111]
/*  mfmaIndex:38  */
/* localReadsVacancy: latencyLeft 13 */
v_mfma_i32_32x32x8i8 a[80+0:95+0], v[vgprValuA_X0_I0+1+0+0], v[vgprValuB_X0_I0+1+0+0], a[80:95]
/*  mfmaIndex:39  */
	;; [unrolled: 3-line block ×10, first 2 shown]
/* localReadsVacancy: latencyLeft 13 */

/* local read swap offsets a */

/* local read swap internal offset -> 16384 */

/* local read swap offsets b */

/* local read swap internal offset -> 16384 */

/* local read init pointers a */

/* localReadInitPointers */

/* local read init pointers b */

/* localReadInitPointers */
v_mfma_i32_32x32x8i8 a[192+0:207+0], v[vgprValuA_X0_I0+0+0+0], v[vgprValuB_X0_I0+3+0+0], a[192:207]
/* numPrefetchIter=0 */
/* dataAtIterA=1 numReadsIterA=3 skipReadsIterA=1 readsPerIterA=16 */
/* dataAtIterB=1 numReadsIterB=3 skipReadsIterB=1 readsPerIterB=16 */


/* iter 3 (swap and reset local write pointers iteration)  */

/*  grEndMfmaIndex:3, lwStartMfmaIndex:52, lwEndMfmaIndex:55  */
/*  numMfmaForLR:6, barrierMfmaIndex:57 */
/*  mfmaIndex:48  */
s_waitcnt lgkmcnt(0)                               // lgkmcnt=0 vmcnt=-1wait for prior local read local write old=0, new=0 newLW=0 newLR=0
/* pack scheduling: packAIdx:3, packBIdx:3 */
_v_lshl_or_b32 v[vgprValuA_X1_I0+0], v65, 0x8, v[vgprValuA_X1_I0+0] // pack two int8 Vgpr to one half Vgpr
_v_lshl_or_b32 v66, v67, 0x8, v66                  // pack two int8 Vgpr to one half Vgpr
v_or_b32 v[vgprValuA_X1_I0+0], v[vgprValuA_X1_I0+0], v66 // pack two half Vgpr to one Vgpr
_v_lshl_or_b32 v[vgprValuB_X1_I0+0], v77, 0x8, v[vgprValuB_X1_I0+0] // pack two int8 Vgpr to one half Vgpr
_v_lshl_or_b32 v78, v79, 0x8, v78                  // pack two int8 Vgpr to one half Vgpr
v_or_b32 v[vgprValuB_X1_I0+0], v[vgprValuB_X1_I0+0], v78 // pack two half Vgpr to one Vgpr
_v_lshl_or_b32 v[vgprValuA_X1_I0+1], v68, 0x8, v[vgprValuA_X1_I0+1] // pack two int8 Vgpr to one half Vgpr
_v_lshl_or_b32 v69, v70, 0x8, v69                  // pack two int8 Vgpr to one half Vgpr
v_or_b32 v[vgprValuA_X1_I0+1], v[vgprValuA_X1_I0+1], v69 // pack two half Vgpr to one Vgpr
v_mfma_i32_32x32x8i8 a[0+0:15+0], v[vgprValuA_X1_I0+0+0+0], v[vgprValuB_X1_I0+0+0+0], a[0:15]
/*  mfmaIndex:49  */
/* pack scheduling: packAIdx:6, packBIdx:3 */
_v_lshl_or_b32 v[vgprValuA_X1_I0+2], v71, 0x8, v[vgprValuA_X1_I0+2] // pack two int8 Vgpr to one half Vgpr
_v_lshl_or_b32 v72, v73, 0x8, v72                  // pack two int8 Vgpr to one half Vgpr
v_or_b32 v[vgprValuA_X1_I0+2], v[vgprValuA_X1_I0+2], v72 // pack two half Vgpr to one Vgpr
_v_lshl_or_b32 v[vgprValuA_X1_I0+3], v74, 0x8, v[vgprValuA_X1_I0+3] // pack two int8 Vgpr to one half Vgpr
_v_lshl_or_b32 v75, v76, 0x8, v75                  // pack two int8 Vgpr to one half Vgpr
v_or_b32 v[vgprValuA_X1_I0+3], v[vgprValuA_X1_I0+3], v75 // pack two half Vgpr to one Vgpr
v_mfma_i32_32x32x8i8 a[16+0:31+0], v[vgprValuA_X1_I0+1+0+0], v[vgprValuB_X1_I0+0+0+0], a[16:31]
/*  mfmaIndex:50  */
/* pack scheduling: packAIdx:9, packBIdx:3 */
_v_lshl_or_b32 v[vgprValuB_X1_I0+1], v80, 0x8, v[vgprValuB_X1_I0+1] // pack two int8 Vgpr to one half Vgpr
_v_lshl_or_b32 v81, v82, 0x8, v81                  // pack two int8 Vgpr to one half Vgpr
v_or_b32 v[vgprValuB_X1_I0+1], v[vgprValuB_X1_I0+1], v81 // pack two half Vgpr to one Vgpr
_v_lshl_or_b32 v[vgprValuB_X1_I0+2], v83, 0x8, v[vgprValuB_X1_I0+2] // pack two int8 Vgpr to one half Vgpr
_v_lshl_or_b32 v84, v85, 0x8, v84                  // pack two int8 Vgpr to one half Vgpr
v_or_b32 v[vgprValuB_X1_I0+2], v[vgprValuB_X1_I0+2], v84 // pack two half Vgpr to one Vgpr
v_mfma_i32_32x32x8i8 a[32+0:47+0], v[vgprValuA_X1_I0+2+0+0], v[vgprValuB_X1_I0+0+0+0], a[32:47]
/*  mfmaIndex:51  */
/* pack scheduling: packAIdx:12, packBIdx:3 */
_v_lshl_or_b32 v[vgprValuB_X1_I0+3], v86, 0x8, v[vgprValuB_X1_I0+3] // pack two int8 Vgpr to one half Vgpr
_v_lshl_or_b32 v87, v88, 0x8, v87                  // pack two int8 Vgpr to one half Vgpr
v_or_b32 v[vgprValuB_X1_I0+3], v[vgprValuB_X1_I0+3], v87 // pack two half Vgpr to one Vgpr
v_mfma_i32_32x32x8i8 a[48+0:63+0], v[vgprValuA_X1_I0+3+0+0], v[vgprValuB_X1_I0+0+0+0], a[48:63]
/*  mfmaIndex:52  */
/* sched write - iter 3 writesPerItem=1 */
s_waitcnt vmcnt(0)                                 // lgkmcnt=-1 vmcnt=0wait for global read before writing to local
_ds_store_b128 v[vgprLocalWriteAddrA], v[vgprG2LA+0:vgprG2LA+0+3] offset:16384 // lwoA_0_0_0_0 = (0*LSCA) + (0*LSPA)(*MT0I+PAD) = 16384
v_mfma_i32_32x32x8i8 a[112+0:127+0], v[vgprValuA_X1_I0+3+0+0], v[vgprValuB_X1_I0+1+0+0], a[112:127]
/*  mfmaIndex:53  */
/* sched write - iter 3 writesPerItem=1 */
s_waitcnt vmcnt(0)                                 // lgkmcnt=-1 vmcnt=0wait for global read before writing to local
_ds_store_b128 v[vgprLocalWriteAddrA], v[vgprG2LA+4:vgprG2LA+4+3] offset:17408 // lwoA_0_0_1_0 = (0*LSCA) + (1*LSPA)(*MT0I+PAD) = 17408
v_mfma_i32_32x32x8i8 a[96+0:111+0], v[vgprValuA_X1_I0+2+0+0], v[vgprValuB_X1_I0+1+0+0], a[96:111]
/*  mfmaIndex:54  */
/* sched write - iter 3 writesPerItem=1 */
s_waitcnt vmcnt(0)                                 // lgkmcnt=-1 vmcnt=0wait for global read before writing to local
_ds_store_b128 v[vgprLocalWriteAddrB], v[vgprG2LB+0:vgprG2LB+0+3] offset:16384 // lwoB_0_0_0_0 = (0*LSCB) + (0*LSPB)(*MT1J+PAD) = 16384
v_mfma_i32_32x32x8i8 a[80+0:95+0], v[vgprValuA_X1_I0+1+0+0], v[vgprValuB_X1_I0+1+0+0], a[80:95]
/*  mfmaIndex:55  */
/* sched write - iter 3 writesPerItem=1 */
s_waitcnt vmcnt(0)                                 // lgkmcnt=-1 vmcnt=0wait for global read before writing to local
_ds_store_b128 v[vgprLocalWriteAddrB], v[vgprG2LB+4:vgprG2LB+4+3] offset:17408 // lwoB_0_0_1_0 = (0*LSCB) + (1*LSPB)(*MT1J+PAD) = 17408

/* local write swap offsets a */

/* (EPS=1) local write swap internal offset -> 0 */

/* local write swap offsets b */

/* (EPS=1) local write swap internal offset -> 0 */
v_mfma_i32_32x32x8i8 a[64+0:79+0], v[vgprValuA_X1_I0+0+0+0], v[vgprValuB_X1_I0+1+0+0], a[64:79]
/*  mfmaIndex:56  */
v_mfma_i32_32x32x8i8 a[128+0:143+0], v[vgprValuA_X1_I0+0+0+0], v[vgprValuB_X1_I0+2+0+0], a[128:143]
/*  mfmaIndex:57  */
s_waitcnt lgkmcnt(0)                               // lgkmcnt=0 vmcnt=-13wait for local write
s_waitcnt lgkmcnt(0) & vmcnt(0)                    // force waitcnt0
s_barrier //
v_mfma_i32_32x32x8i8 a[144+0:159+0], v[vgprValuA_X1_I0+1+0+0], v[vgprValuB_X1_I0+2+0+0], a[144:159]
/*  mfmaIndex:58  */
_ds_load_u8 v[vgprValuA_X0_I0+0], v[vgprLocalReadAddrA] offset:16384 // L -> Reg lro=0 swapByteOffset=16384 ti=256 vIdx=0 rIdx=0 oIdx=0 buffer=0 iui=0
_ds_load_u8 v41, v[vgprLocalReadAddrA] offset:16640 // L -> Reg lro=0 swapByteOffset=16384 ti=256 vIdx=0 rIdx=1 oIdx=0 buffer=0 iui=0
_ds_load_u8_d16_hi v42, v[vgprLocalReadAddrA] offset:16896 // L -> Reg lro=0 swapByteOffset=16384 ti=256 vIdx=0 rIdx=2 oIdx=0 buffer=0 iui=0
_ds_load_u8_d16_hi v43, v[vgprLocalReadAddrA] offset:17152 // L -> Reg lro=0 swapByteOffset=16384 ti=256 vIdx=0 rIdx=3 oIdx=0 buffer=0 iui=0
_ds_load_u8 v[vgprValuB_X0_I0+0], v[vgprLocalReadAddrB] offset:16384 // L -> Reg lro=0 swapByteOffset=16384 ti=256 vIdx=0 rIdx=0 oIdx=0 buffer=0 iui=0
_ds_load_u8 v53, v[vgprLocalReadAddrB] offset:16640 // L -> Reg lro=0 swapByteOffset=16384 ti=256 vIdx=0 rIdx=1 oIdx=0 buffer=0 iui=0
v_mfma_i32_32x32x8i8 a[160+0:175+0], v[vgprValuA_X1_I0+2+0+0], v[vgprValuB_X1_I0+2+0+0], a[160:175]
/*  mfmaIndex:59  */
_ds_load_u8_d16_hi v54, v[vgprLocalReadAddrB] offset:16896 // L -> Reg lro=0 swapByteOffset=16384 ti=256 vIdx=0 rIdx=2 oIdx=0 buffer=0 iui=0
_ds_load_u8_d16_hi v55, v[vgprLocalReadAddrB] offset:17152 // L -> Reg lro=0 swapByteOffset=16384 ti=256 vIdx=0 rIdx=3 oIdx=0 buffer=0 iui=0
_ds_load_u8 v[vgprValuA_X0_I0+1], v[vgprLocalReadAddrA] offset:16385 // L -> Reg lro=0 swapByteOffset=16384 ti=256 vIdx=0 rIdx=0 oIdx=0 buffer=0 iui=0
_ds_load_u8 v44, v[vgprLocalReadAddrA] offset:16641 // L -> Reg lro=0 swapByteOffset=16384 ti=256 vIdx=0 rIdx=1 oIdx=0 buffer=0 iui=0
_ds_load_u8_d16_hi v45, v[vgprLocalReadAddrA] offset:16897 // L -> Reg lro=0 swapByteOffset=16384 ti=256 vIdx=0 rIdx=2 oIdx=0 buffer=0 iui=0
_ds_load_u8_d16_hi v46, v[vgprLocalReadAddrA] offset:17153 // L -> Reg lro=0 swapByteOffset=16384 ti=256 vIdx=0 rIdx=3 oIdx=0 buffer=0 iui=0
v_mfma_i32_32x32x8i8 a[176+0:191+0], v[vgprValuA_X1_I0+3+0+0], v[vgprValuB_X1_I0+2+0+0], a[176:191]
/*  mfmaIndex:60  */
_ds_load_u8 v[vgprValuA_X0_I0+2], v[vgprLocalReadAddrA] offset:16386 // L -> Reg lro=0 swapByteOffset=16384 ti=256 vIdx=0 rIdx=0 oIdx=0 buffer=0 iui=0
_ds_load_u8 v47, v[vgprLocalReadAddrA] offset:16642 // L -> Reg lro=0 swapByteOffset=16384 ti=256 vIdx=0 rIdx=1 oIdx=0 buffer=0 iui=0
_ds_load_u8_d16_hi v48, v[vgprLocalReadAddrA] offset:16898 // L -> Reg lro=0 swapByteOffset=16384 ti=256 vIdx=0 rIdx=2 oIdx=0 buffer=0 iui=0
_ds_load_u8_d16_hi v49, v[vgprLocalReadAddrA] offset:17154 // L -> Reg lro=0 swapByteOffset=16384 ti=256 vIdx=0 rIdx=3 oIdx=0 buffer=0 iui=0
_ds_load_u8 v[vgprValuA_X0_I0+3], v[vgprLocalReadAddrA] offset:16387 // L -> Reg lro=0 swapByteOffset=16384 ti=256 vIdx=0 rIdx=0 oIdx=0 buffer=0 iui=0
_ds_load_u8 v50, v[vgprLocalReadAddrA] offset:16643 // L -> Reg lro=0 swapByteOffset=16384 ti=256 vIdx=0 rIdx=1 oIdx=0 buffer=0 iui=0
v_mfma_i32_32x32x8i8 a[240+0:255+0], v[vgprValuA_X1_I0+3+0+0], v[vgprValuB_X1_I0+3+0+0], a[240:255]
/*  mfmaIndex:61  */
_ds_load_u8_d16_hi v51, v[vgprLocalReadAddrA] offset:16899 // L -> Reg lro=0 swapByteOffset=16384 ti=256 vIdx=0 rIdx=2 oIdx=0 buffer=0 iui=0
_ds_load_u8_d16_hi v52, v[vgprLocalReadAddrA] offset:17155 // L -> Reg lro=0 swapByteOffset=16384 ti=256 vIdx=0 rIdx=3 oIdx=0 buffer=0 iui=0
_ds_load_u8 v[vgprValuB_X0_I0+1], v[vgprLocalReadAddrB] offset:16385 // L -> Reg lro=0 swapByteOffset=16384 ti=256 vIdx=0 rIdx=0 oIdx=0 buffer=0 iui=0
_ds_load_u8 v56, v[vgprLocalReadAddrB] offset:16641 // L -> Reg lro=0 swapByteOffset=16384 ti=256 vIdx=0 rIdx=1 oIdx=0 buffer=0 iui=0
_ds_load_u8_d16_hi v57, v[vgprLocalReadAddrB] offset:16897 // L -> Reg lro=0 swapByteOffset=16384 ti=256 vIdx=0 rIdx=2 oIdx=0 buffer=0 iui=0
_ds_load_u8_d16_hi v58, v[vgprLocalReadAddrB] offset:17153 // L -> Reg lro=0 swapByteOffset=16384 ti=256 vIdx=0 rIdx=3 oIdx=0 buffer=0 iui=0
v_mfma_i32_32x32x8i8 a[224+0:239+0], v[vgprValuA_X1_I0+2+0+0], v[vgprValuB_X1_I0+3+0+0], a[224:239]
/*  mfmaIndex:62  */
_ds_load_u8 v[vgprValuB_X0_I0+2], v[vgprLocalReadAddrB] offset:16386 // L -> Reg lro=0 swapByteOffset=16384 ti=256 vIdx=0 rIdx=0 oIdx=0 buffer=0 iui=0
_ds_load_u8 v59, v[vgprLocalReadAddrB] offset:16642 // L -> Reg lro=0 swapByteOffset=16384 ti=256 vIdx=0 rIdx=1 oIdx=0 buffer=0 iui=0
_ds_load_u8_d16_hi v60, v[vgprLocalReadAddrB] offset:16898 // L -> Reg lro=0 swapByteOffset=16384 ti=256 vIdx=0 rIdx=2 oIdx=0 buffer=0 iui=0
_ds_load_u8_d16_hi v61, v[vgprLocalReadAddrB] offset:17154 // L -> Reg lro=0 swapByteOffset=16384 ti=256 vIdx=0 rIdx=3 oIdx=0 buffer=0 iui=0
_ds_load_u8 v[vgprValuB_X0_I0+3], v[vgprLocalReadAddrB] offset:16387 // L -> Reg lro=0 swapByteOffset=16384 ti=256 vIdx=0 rIdx=0 oIdx=0 buffer=0 iui=0
_ds_load_u8 v62, v[vgprLocalReadAddrB] offset:16643 // L -> Reg lro=0 swapByteOffset=16384 ti=256 vIdx=0 rIdx=1 oIdx=0 buffer=0 iui=0
v_mfma_i32_32x32x8i8 a[208+0:223+0], v[vgprValuA_X1_I0+1+0+0], v[vgprValuB_X1_I0+3+0+0], a[208:223]
/*  mfmaIndex:63  */
_ds_load_u8_d16_hi v63, v[vgprLocalReadAddrB] offset:16899 // L -> Reg lro=0 swapByteOffset=16384 ti=256 vIdx=0 rIdx=2 oIdx=0 buffer=0 iui=0
_ds_load_u8_d16_hi v64, v[vgprLocalReadAddrB] offset:17155 // L -> Reg lro=0 swapByteOffset=16384 ti=256 vIdx=0 rIdx=3 oIdx=0 buffer=0 iui=0
v_mfma_i32_32x32x8i8 a[192+0:207+0], v[vgprValuA_X1_I0+0+0+0], v[vgprValuB_X1_I0+3+0+0], a[192:207]
/* numPrefetchIter=1 */
/* dataAtIterA=2 numReadsIterA=3 skipReadsIterA=1 readsPerIterA=16 */
/* dataAtIterB=2 numReadsIterB=3 skipReadsIterB=1 readsPerIterB=16 */


/******************************************/
/* Unrolled Loop - End 1/2                */
/******************************************/


/* closeLoop loopL finalLoop=0 tailLoop=0 */
s_sub_u32 s[sgprLoopCounterL], s[sgprLoopCounterL], 1 // dec counterL
s_cmp_eq_i32 s[sgprLoopCounterL], 0x1              // counterL==1
s_cbranch_scc1 LoopEndL_oddexit_3                  // exit LoopL


/******************************************/
/* Unrolled Loop 2/2 - Begin              */
/******************************************/

label_0017: // LoopCopy2 


/* Begin Each Unroll: Check VGPR.checkin for INT8 LW */


	;; [unrolled: 1-line block ×3, first 2 shown]
/* iter 0 */

/*  grEndMfmaIndex:3, lwStartMfmaIndex:52, lwEndMfmaIndex:55  */
/*  numMfmaForLR:6, barrierMfmaIndex:57 */
/*  mfmaIndex:0  */
_buffer_load_b128 v[vgprG2LA+0:vgprG2LA+0+3], v[vgprGlobalReadOffsetA+0], s[sgprSrdA:sgprSrdA+3], 0, offen offset:0 // G -> Reg 0_0_0_0
s_waitcnt lgkmcnt(0)                               // lgkmcnt=0 vmcnt=-1wait for prior local read local write old=0, new=0 newLW=0 newLR=0
/* pack scheduling: packAIdx:3, packBIdx:3 */
_v_lshl_or_b32 v[vgprValuA_X0_I0+0], v41, 0x8, v[vgprValuA_X0_I0+0] // pack two int8 Vgpr to one half Vgpr
_v_lshl_or_b32 v42, v43, 0x8, v42                  // pack two int8 Vgpr to one half Vgpr
v_or_b32 v[vgprValuA_X0_I0+0], v[vgprValuA_X0_I0+0], v42 // pack two half Vgpr to one Vgpr
_v_lshl_or_b32 v[vgprValuB_X0_I0+0], v53, 0x8, v[vgprValuB_X0_I0+0] // pack two int8 Vgpr to one half Vgpr
_v_lshl_or_b32 v54, v55, 0x8, v54                  // pack two int8 Vgpr to one half Vgpr
v_or_b32 v[vgprValuB_X0_I0+0], v[vgprValuB_X0_I0+0], v54 // pack two half Vgpr to one Vgpr
_v_lshl_or_b32 v[vgprValuA_X0_I0+1], v44, 0x8, v[vgprValuA_X0_I0+1] // pack two int8 Vgpr to one half Vgpr
_v_lshl_or_b32 v45, v46, 0x8, v45                  // pack two int8 Vgpr to one half Vgpr
v_or_b32 v[vgprValuA_X0_I0+1], v[vgprValuA_X0_I0+1], v45 // pack two half Vgpr to one Vgpr
v_mfma_i32_32x32x8i8 a[0+0:15+0], v[vgprValuA_X0_I0+0+0+0], v[vgprValuB_X0_I0+0+0+0], a[0:15]
/*  mfmaIndex:1  */
_ds_load_u8 v[vgprValuA_X1_I0+0], v[vgprLocalReadAddrA] offset:18432 // L -> Reg lro=2048 swapByteOffset=16384 ti=256 vIdx=0 rIdx=0 oIdx=0 buffer=1 iui=0
_ds_load_u8 v65, v[vgprLocalReadAddrA] offset:18688 // L -> Reg lro=2048 swapByteOffset=16384 ti=256 vIdx=0 rIdx=1 oIdx=0 buffer=1 iui=0
_ds_load_u8_d16_hi v66, v[vgprLocalReadAddrA] offset:18944 // L -> Reg lro=2048 swapByteOffset=16384 ti=256 vIdx=0 rIdx=2 oIdx=0 buffer=1 iui=0
_ds_load_u8_d16_hi v67, v[vgprLocalReadAddrA] offset:19200 // L -> Reg lro=2048 swapByteOffset=16384 ti=256 vIdx=0 rIdx=3 oIdx=0 buffer=1 iui=0
_ds_load_u8 v[vgprValuB_X1_I0+0], v[vgprLocalReadAddrB] offset:18432 // L -> Reg lro=2048 swapByteOffset=16384 ti=256 vIdx=0 rIdx=0 oIdx=0 buffer=1 iui=0
_ds_load_u8 v77, v[vgprLocalReadAddrB] offset:18688 // L -> Reg lro=2048 swapByteOffset=16384 ti=256 vIdx=0 rIdx=1 oIdx=0 buffer=1 iui=0
_buffer_load_b128 v[vgprG2LA+4:vgprG2LA+4+3], v[vgprGlobalReadOffsetA+1], s[sgprSrdA:sgprSrdA+3], 0, offen offset:0 // G -> Reg 0_0_1_0
/* pack scheduling: packAIdx:6, packBIdx:3 */
_v_lshl_or_b32 v[vgprValuA_X0_I0+2], v47, 0x8, v[vgprValuA_X0_I0+2] // pack two int8 Vgpr to one half Vgpr
_v_lshl_or_b32 v48, v49, 0x8, v48                  // pack two int8 Vgpr to one half Vgpr
v_or_b32 v[vgprValuA_X0_I0+2], v[vgprValuA_X0_I0+2], v48 // pack two half Vgpr to one Vgpr
_v_lshl_or_b32 v[vgprValuA_X0_I0+3], v50, 0x8, v[vgprValuA_X0_I0+3] // pack two int8 Vgpr to one half Vgpr
_v_lshl_or_b32 v51, v52, 0x8, v51                  // pack two int8 Vgpr to one half Vgpr
v_or_b32 v[vgprValuA_X0_I0+3], v[vgprValuA_X0_I0+3], v51 // pack two half Vgpr to one Vgpr
v_mfma_i32_32x32x8i8 a[16+0:31+0], v[vgprValuA_X0_I0+1+0+0], v[vgprValuB_X0_I0+0+0+0], a[16:31]
/*  mfmaIndex:2  */
_ds_load_u8_d16_hi v78, v[vgprLocalReadAddrB] offset:18944 // L -> Reg lro=2048 swapByteOffset=16384 ti=256 vIdx=0 rIdx=2 oIdx=0 buffer=1 iui=0
_ds_load_u8_d16_hi v79, v[vgprLocalReadAddrB] offset:19200 // L -> Reg lro=2048 swapByteOffset=16384 ti=256 vIdx=0 rIdx=3 oIdx=0 buffer=1 iui=0
_ds_load_u8 v[vgprValuA_X1_I0+1], v[vgprLocalReadAddrA] offset:18433 // L -> Reg lro=2048 swapByteOffset=16384 ti=256 vIdx=0 rIdx=0 oIdx=0 buffer=1 iui=0
_ds_load_u8 v68, v[vgprLocalReadAddrA] offset:18689 // L -> Reg lro=2048 swapByteOffset=16384 ti=256 vIdx=0 rIdx=1 oIdx=0 buffer=1 iui=0
_ds_load_u8_d16_hi v69, v[vgprLocalReadAddrA] offset:18945 // L -> Reg lro=2048 swapByteOffset=16384 ti=256 vIdx=0 rIdx=2 oIdx=0 buffer=1 iui=0
_ds_load_u8_d16_hi v70, v[vgprLocalReadAddrA] offset:19201 // L -> Reg lro=2048 swapByteOffset=16384 ti=256 vIdx=0 rIdx=3 oIdx=0 buffer=1 iui=0
_buffer_load_b128 v[vgprG2LB+0:vgprG2LB+0+3], v[vgprGlobalReadOffsetB+0], s[sgprSrdB:sgprSrdB+3], 0, offen offset:0 // G -> Reg 0_0_0_0
/* pack scheduling: packAIdx:9, packBIdx:3 */
_v_lshl_or_b32 v[vgprValuB_X0_I0+1], v56, 0x8, v[vgprValuB_X0_I0+1] // pack two int8 Vgpr to one half Vgpr
_v_lshl_or_b32 v57, v58, 0x8, v57                  // pack two int8 Vgpr to one half Vgpr
v_or_b32 v[vgprValuB_X0_I0+1], v[vgprValuB_X0_I0+1], v57 // pack two half Vgpr to one Vgpr
_v_lshl_or_b32 v[vgprValuB_X0_I0+2], v59, 0x8, v[vgprValuB_X0_I0+2] // pack two int8 Vgpr to one half Vgpr
_v_lshl_or_b32 v60, v61, 0x8, v60                  // pack two int8 Vgpr to one half Vgpr
v_or_b32 v[vgprValuB_X0_I0+2], v[vgprValuB_X0_I0+2], v60 // pack two half Vgpr to one Vgpr
v_mfma_i32_32x32x8i8 a[32+0:47+0], v[vgprValuA_X0_I0+2+0+0], v[vgprValuB_X0_I0+0+0+0], a[32:47]
/*  mfmaIndex:3  */
_ds_load_u8 v[vgprValuA_X1_I0+2], v[vgprLocalReadAddrA] offset:18434 // L -> Reg lro=2048 swapByteOffset=16384 ti=256 vIdx=0 rIdx=0 oIdx=0 buffer=1 iui=0
_ds_load_u8 v71, v[vgprLocalReadAddrA] offset:18690 // L -> Reg lro=2048 swapByteOffset=16384 ti=256 vIdx=0 rIdx=1 oIdx=0 buffer=1 iui=0
_ds_load_u8_d16_hi v72, v[vgprLocalReadAddrA] offset:18946 // L -> Reg lro=2048 swapByteOffset=16384 ti=256 vIdx=0 rIdx=2 oIdx=0 buffer=1 iui=0
_ds_load_u8_d16_hi v73, v[vgprLocalReadAddrA] offset:19202 // L -> Reg lro=2048 swapByteOffset=16384 ti=256 vIdx=0 rIdx=3 oIdx=0 buffer=1 iui=0
_ds_load_u8 v[vgprValuA_X1_I0+3], v[vgprLocalReadAddrA] offset:18435 // L -> Reg lro=2048 swapByteOffset=16384 ti=256 vIdx=0 rIdx=0 oIdx=0 buffer=1 iui=0
_ds_load_u8 v74, v[vgprLocalReadAddrA] offset:18691 // L -> Reg lro=2048 swapByteOffset=16384 ti=256 vIdx=0 rIdx=1 oIdx=0 buffer=1 iui=0
_buffer_load_b128 v[vgprG2LB+4:vgprG2LB+4+3], v[vgprGlobalReadOffsetB+1], s[sgprSrdB:sgprSrdB+3], 0, offen offset:0 // G -> Reg 0_0_1_0
/* pack scheduling: packAIdx:12, packBIdx:3 */
_v_lshl_or_b32 v[vgprValuB_X0_I0+3], v62, 0x8, v[vgprValuB_X0_I0+3] // pack two int8 Vgpr to one half Vgpr
_v_lshl_or_b32 v63, v64, 0x8, v63                  // pack two int8 Vgpr to one half Vgpr
v_or_b32 v[vgprValuB_X0_I0+3], v[vgprValuB_X0_I0+3], v63 // pack two half Vgpr to one Vgpr
v_mfma_i32_32x32x8i8 a[48+0:63+0], v[vgprValuA_X0_I0+3+0+0], v[vgprValuB_X0_I0+0+0+0], a[48:63]
/*  mfmaIndex:4  */
_ds_load_u8_d16_hi v75, v[vgprLocalReadAddrA] offset:18947 // L -> Reg lro=2048 swapByteOffset=16384 ti=256 vIdx=0 rIdx=2 oIdx=0 buffer=1 iui=0
_ds_load_u8_d16_hi v76, v[vgprLocalReadAddrA] offset:19203 // L -> Reg lro=2048 swapByteOffset=16384 ti=256 vIdx=0 rIdx=3 oIdx=0 buffer=1 iui=0
_ds_load_u8 v[vgprValuB_X1_I0+1], v[vgprLocalReadAddrB] offset:18433 // L -> Reg lro=2048 swapByteOffset=16384 ti=256 vIdx=0 rIdx=0 oIdx=0 buffer=1 iui=0
_ds_load_u8 v80, v[vgprLocalReadAddrB] offset:18689 // L -> Reg lro=2048 swapByteOffset=16384 ti=256 vIdx=0 rIdx=1 oIdx=0 buffer=1 iui=0
_ds_load_u8_d16_hi v81, v[vgprLocalReadAddrB] offset:18945 // L -> Reg lro=2048 swapByteOffset=16384 ti=256 vIdx=0 rIdx=2 oIdx=0 buffer=1 iui=0
_ds_load_u8_d16_hi v82, v[vgprLocalReadAddrB] offset:19201 // L -> Reg lro=2048 swapByteOffset=16384 ti=256 vIdx=0 rIdx=3 oIdx=0 buffer=1 iui=0

/* global read inc A loopL */
s_add_u32 s[sgprSrdA+0], s[sgprSrdA+0], s[sgprGlobalReadIncsA+0] // gra SRD += inc(lower)
s_addc_u32  s[sgprSrdA+1], s[sgprSrdA+1], 0        // gra SRD += inc(upper)
s_sub_u32 s[sgprShadowLimitA+0], s[sgprShadowLimitA+0], s[sgprGlobalReadIncsA+0] // limit -= inc)
s_subb_u32 s[sgprShadowLimitA+1], s[sgprShadowLimitA+1], 0 // limit -= inc)
s_cmp_eq_u32 s[sgprShadowLimitA+1], 0              // are we within 2^32?
s_cmov_b32 s[sgprSrdA+2], s[sgprShadowLimitA+0]    // Move shadow to real if we are within 2^32

/* global read inc B loopL */
s_add_u32 s[sgprSrdB+0], s[sgprSrdB+0], s[sgprGlobalReadIncsB+0] // gra SRD += inc(lower)
v_mfma_i32_32x32x8i8 a[112+0:127+0], v[vgprValuA_X0_I0+3+0+0], v[vgprValuB_X0_I0+1+0+0], a[112:127]
/*  mfmaIndex:5  */
_ds_load_u8 v[vgprValuB_X1_I0+2], v[vgprLocalReadAddrB] offset:18434 // L -> Reg lro=2048 swapByteOffset=16384 ti=256 vIdx=0 rIdx=0 oIdx=0 buffer=1 iui=0
_ds_load_u8 v83, v[vgprLocalReadAddrB] offset:18690 // L -> Reg lro=2048 swapByteOffset=16384 ti=256 vIdx=0 rIdx=1 oIdx=0 buffer=1 iui=0
_ds_load_u8_d16_hi v84, v[vgprLocalReadAddrB] offset:18946 // L -> Reg lro=2048 swapByteOffset=16384 ti=256 vIdx=0 rIdx=2 oIdx=0 buffer=1 iui=0
_ds_load_u8_d16_hi v85, v[vgprLocalReadAddrB] offset:19202 // L -> Reg lro=2048 swapByteOffset=16384 ti=256 vIdx=0 rIdx=3 oIdx=0 buffer=1 iui=0
_ds_load_u8 v[vgprValuB_X1_I0+3], v[vgprLocalReadAddrB] offset:18435 // L -> Reg lro=2048 swapByteOffset=16384 ti=256 vIdx=0 rIdx=0 oIdx=0 buffer=1 iui=0
_ds_load_u8 v86, v[vgprLocalReadAddrB] offset:18691 // L -> Reg lro=2048 swapByteOffset=16384 ti=256 vIdx=0 rIdx=1 oIdx=0 buffer=1 iui=0
s_addc_u32  s[sgprSrdB+1], s[sgprSrdB+1], 0        // gra SRD += inc(upper)
s_sub_u32 s[sgprShadowLimitB+0], s[sgprShadowLimitB+0], s[sgprGlobalReadIncsB+0] // limit -= inc)
s_subb_u32 s[sgprShadowLimitB+1], s[sgprShadowLimitB+1], 0 // limit -= inc)
s_cmp_eq_u32 s[sgprShadowLimitB+1], 0              // are we within 2^32?
s_cmov_b32 s[sgprSrdB+2], s[sgprShadowLimitB+0]    // Move shadow to real if we are within 2^32
v_mfma_i32_32x32x8i8 a[96+0:111+0], v[vgprValuA_X0_I0+2+0+0], v[vgprValuB_X0_I0+1+0+0], a[96:111]
/*  mfmaIndex:6  */
_ds_load_u8_d16_hi v87, v[vgprLocalReadAddrB] offset:18947 // L -> Reg lro=2048 swapByteOffset=16384 ti=256 vIdx=0 rIdx=2 oIdx=0 buffer=1 iui=0
_ds_load_u8_d16_hi v88, v[vgprLocalReadAddrB] offset:19203 // L -> Reg lro=2048 swapByteOffset=16384 ti=256 vIdx=0 rIdx=3 oIdx=0 buffer=1 iui=0
/* localReadsVacancy: latencyLeft 9 */
v_mfma_i32_32x32x8i8 a[80+0:95+0], v[vgprValuA_X0_I0+1+0+0], v[vgprValuB_X0_I0+1+0+0], a[80:95]
/*  mfmaIndex:7  */
/* localReadsVacancy: latencyLeft 13 */
v_mfma_i32_32x32x8i8 a[64+0:79+0], v[vgprValuA_X0_I0+0+0+0], v[vgprValuB_X0_I0+1+0+0], a[64:79]
/*  mfmaIndex:8  */
/* localReadsVacancy: latencyLeft 13 */
v_mfma_i32_32x32x8i8 a[128+0:143+0], v[vgprValuA_X0_I0+0+0+0], v[vgprValuB_X0_I0+2+0+0], a[128:143]
/*  mfmaIndex:9  */
/* localReadsVacancy: latencyLeft 13 */
v_mfma_i32_32x32x8i8 a[144+0:159+0], v[vgprValuA_X0_I0+1+0+0], v[vgprValuB_X0_I0+2+0+0], a[144:159]
/*  mfmaIndex:10  */
/* localReadsVacancy: latencyLeft 13 */
v_mfma_i32_32x32x8i8 a[160+0:175+0], v[vgprValuA_X0_I0+2+0+0], v[vgprValuB_X0_I0+2+0+0], a[160:175]
/*  mfmaIndex:11  */
/* localReadsVacancy: latencyLeft 13 */
v_mfma_i32_32x32x8i8 a[176+0:191+0], v[vgprValuA_X0_I0+3+0+0], v[vgprValuB_X0_I0+2+0+0], a[176:191]
/*  mfmaIndex:12  */
/* localReadsVacancy: latencyLeft 13 */
v_mfma_i32_32x32x8i8 a[240+0:255+0], v[vgprValuA_X0_I0+3+0+0], v[vgprValuB_X0_I0+3+0+0], a[240:255]
/*  mfmaIndex:13  */
/* localReadsVacancy: latencyLeft 13 */
v_mfma_i32_32x32x8i8 a[224+0:239+0], v[vgprValuA_X0_I0+2+0+0], v[vgprValuB_X0_I0+3+0+0], a[224:239]
/*  mfmaIndex:14  */
/* localReadsVacancy: latencyLeft 13 */
v_mfma_i32_32x32x8i8 a[208+0:223+0], v[vgprValuA_X0_I0+1+0+0], v[vgprValuB_X0_I0+3+0+0], a[208:223]
/*  mfmaIndex:15  */
/* localReadsVacancy: latencyLeft 13 */
v_mfma_i32_32x32x8i8 a[192+0:207+0], v[vgprValuA_X0_I0+0+0+0], v[vgprValuB_X0_I0+3+0+0], a[192:207]
/* numPrefetchIter=0 */
/* dataAtIterA=-1 numReadsIterA=1 skipReadsIterA=1 readsPerIterA=16 */
/* dataAtIterB=-1 numReadsIterB=1 skipReadsIterB=1 readsPerIterB=16 */


/* iter 1 */

/*  grEndMfmaIndex:3, lwStartMfmaIndex:52, lwEndMfmaIndex:55  */
/*  numMfmaForLR:6, barrierMfmaIndex:57 */
/*  mfmaIndex:16  */
_ds_load_u8 v[vgprValuA_X0_I0+0], v[vgprLocalReadAddrA] offset:20480 // L -> Reg lro=4096 swapByteOffset=16384 ti=256 vIdx=0 rIdx=0 oIdx=0 buffer=0 iui=0
_ds_load_u8 v41, v[vgprLocalReadAddrA] offset:20736 // L -> Reg lro=4096 swapByteOffset=16384 ti=256 vIdx=0 rIdx=1 oIdx=0 buffer=0 iui=0
_ds_load_u8_d16_hi v42, v[vgprLocalReadAddrA] offset:20992 // L -> Reg lro=4096 swapByteOffset=16384 ti=256 vIdx=0 rIdx=2 oIdx=0 buffer=0 iui=0
_ds_load_u8_d16_hi v43, v[vgprLocalReadAddrA] offset:21248 // L -> Reg lro=4096 swapByteOffset=16384 ti=256 vIdx=0 rIdx=3 oIdx=0 buffer=0 iui=0
_ds_load_u8 v[vgprValuB_X0_I0+0], v[vgprLocalReadAddrB] offset:20480 // L -> Reg lro=4096 swapByteOffset=16384 ti=256 vIdx=0 rIdx=0 oIdx=0 buffer=0 iui=0
_ds_load_u8 v53, v[vgprLocalReadAddrB] offset:20736 // L -> Reg lro=4096 swapByteOffset=16384 ti=256 vIdx=0 rIdx=1 oIdx=0 buffer=0 iui=0
s_waitcnt lgkmcnt(6)                               // lgkmcnt=0 vmcnt=-1wait for prior local read local write old=0, new=6 newLW=0 newLR=6
/* pack scheduling: packAIdx:3, packBIdx:3 */
_v_lshl_or_b32 v[vgprValuA_X1_I0+0], v65, 0x8, v[vgprValuA_X1_I0+0] // pack two int8 Vgpr to one half Vgpr
_v_lshl_or_b32 v66, v67, 0x8, v66                  // pack two int8 Vgpr to one half Vgpr
v_or_b32 v[vgprValuA_X1_I0+0], v[vgprValuA_X1_I0+0], v66 // pack two half Vgpr to one Vgpr
_v_lshl_or_b32 v[vgprValuB_X1_I0+0], v77, 0x8, v[vgprValuB_X1_I0+0] // pack two int8 Vgpr to one half Vgpr
_v_lshl_or_b32 v78, v79, 0x8, v78                  // pack two int8 Vgpr to one half Vgpr
v_or_b32 v[vgprValuB_X1_I0+0], v[vgprValuB_X1_I0+0], v78 // pack two half Vgpr to one Vgpr
_v_lshl_or_b32 v[vgprValuA_X1_I0+1], v68, 0x8, v[vgprValuA_X1_I0+1] // pack two int8 Vgpr to one half Vgpr
_v_lshl_or_b32 v69, v70, 0x8, v69                  // pack two int8 Vgpr to one half Vgpr
v_or_b32 v[vgprValuA_X1_I0+1], v[vgprValuA_X1_I0+1], v69 // pack two half Vgpr to one Vgpr
v_mfma_i32_32x32x8i8 a[0+0:15+0], v[vgprValuA_X1_I0+0+0+0], v[vgprValuB_X1_I0+0+0+0], a[0:15]
/*  mfmaIndex:17  */
_ds_load_u8_d16_hi v54, v[vgprLocalReadAddrB] offset:20992 // L -> Reg lro=4096 swapByteOffset=16384 ti=256 vIdx=0 rIdx=2 oIdx=0 buffer=0 iui=0
_ds_load_u8_d16_hi v55, v[vgprLocalReadAddrB] offset:21248 // L -> Reg lro=4096 swapByteOffset=16384 ti=256 vIdx=0 rIdx=3 oIdx=0 buffer=0 iui=0
_ds_load_u8 v[vgprValuA_X0_I0+1], v[vgprLocalReadAddrA] offset:20481 // L -> Reg lro=4096 swapByteOffset=16384 ti=256 vIdx=0 rIdx=0 oIdx=0 buffer=0 iui=0
_ds_load_u8 v44, v[vgprLocalReadAddrA] offset:20737 // L -> Reg lro=4096 swapByteOffset=16384 ti=256 vIdx=0 rIdx=1 oIdx=0 buffer=0 iui=0
_ds_load_u8_d16_hi v45, v[vgprLocalReadAddrA] offset:20993 // L -> Reg lro=4096 swapByteOffset=16384 ti=256 vIdx=0 rIdx=2 oIdx=0 buffer=0 iui=0
_ds_load_u8_d16_hi v46, v[vgprLocalReadAddrA] offset:21249 // L -> Reg lro=4096 swapByteOffset=16384 ti=256 vIdx=0 rIdx=3 oIdx=0 buffer=0 iui=0
/* pack scheduling: packAIdx:6, packBIdx:3 */
_v_lshl_or_b32 v[vgprValuA_X1_I0+2], v71, 0x8, v[vgprValuA_X1_I0+2] // pack two int8 Vgpr to one half Vgpr
_v_lshl_or_b32 v72, v73, 0x8, v72                  // pack two int8 Vgpr to one half Vgpr
v_or_b32 v[vgprValuA_X1_I0+2], v[vgprValuA_X1_I0+2], v72 // pack two half Vgpr to one Vgpr
_v_lshl_or_b32 v[vgprValuA_X1_I0+3], v74, 0x8, v[vgprValuA_X1_I0+3] // pack two int8 Vgpr to one half Vgpr
_v_lshl_or_b32 v75, v76, 0x8, v75                  // pack two int8 Vgpr to one half Vgpr
v_or_b32 v[vgprValuA_X1_I0+3], v[vgprValuA_X1_I0+3], v75 // pack two half Vgpr to one Vgpr
v_mfma_i32_32x32x8i8 a[16+0:31+0], v[vgprValuA_X1_I0+1+0+0], v[vgprValuB_X1_I0+0+0+0], a[16:31]
/*  mfmaIndex:18  */
_ds_load_u8 v[vgprValuA_X0_I0+2], v[vgprLocalReadAddrA] offset:20482 // L -> Reg lro=4096 swapByteOffset=16384 ti=256 vIdx=0 rIdx=0 oIdx=0 buffer=0 iui=0
_ds_load_u8 v47, v[vgprLocalReadAddrA] offset:20738 // L -> Reg lro=4096 swapByteOffset=16384 ti=256 vIdx=0 rIdx=1 oIdx=0 buffer=0 iui=0
_ds_load_u8_d16_hi v48, v[vgprLocalReadAddrA] offset:20994 // L -> Reg lro=4096 swapByteOffset=16384 ti=256 vIdx=0 rIdx=2 oIdx=0 buffer=0 iui=0
_ds_load_u8_d16_hi v49, v[vgprLocalReadAddrA] offset:21250 // L -> Reg lro=4096 swapByteOffset=16384 ti=256 vIdx=0 rIdx=3 oIdx=0 buffer=0 iui=0
_ds_load_u8 v[vgprValuA_X0_I0+3], v[vgprLocalReadAddrA] offset:20483 // L -> Reg lro=4096 swapByteOffset=16384 ti=256 vIdx=0 rIdx=0 oIdx=0 buffer=0 iui=0
_ds_load_u8 v50, v[vgprLocalReadAddrA] offset:20739 // L -> Reg lro=4096 swapByteOffset=16384 ti=256 vIdx=0 rIdx=1 oIdx=0 buffer=0 iui=0
/* pack scheduling: packAIdx:9, packBIdx:3 */
_v_lshl_or_b32 v[vgprValuB_X1_I0+1], v80, 0x8, v[vgprValuB_X1_I0+1] // pack two int8 Vgpr to one half Vgpr
_v_lshl_or_b32 v81, v82, 0x8, v81                  // pack two int8 Vgpr to one half Vgpr
v_or_b32 v[vgprValuB_X1_I0+1], v[vgprValuB_X1_I0+1], v81 // pack two half Vgpr to one Vgpr
_v_lshl_or_b32 v[vgprValuB_X1_I0+2], v83, 0x8, v[vgprValuB_X1_I0+2] // pack two int8 Vgpr to one half Vgpr
_v_lshl_or_b32 v84, v85, 0x8, v84                  // pack two int8 Vgpr to one half Vgpr
v_or_b32 v[vgprValuB_X1_I0+2], v[vgprValuB_X1_I0+2], v84 // pack two half Vgpr to one Vgpr
v_mfma_i32_32x32x8i8 a[32+0:47+0], v[vgprValuA_X1_I0+2+0+0], v[vgprValuB_X1_I0+0+0+0], a[32:47]
/*  mfmaIndex:19  */
_ds_load_u8_d16_hi v51, v[vgprLocalReadAddrA] offset:20995 // L -> Reg lro=4096 swapByteOffset=16384 ti=256 vIdx=0 rIdx=2 oIdx=0 buffer=0 iui=0
_ds_load_u8_d16_hi v52, v[vgprLocalReadAddrA] offset:21251 // L -> Reg lro=4096 swapByteOffset=16384 ti=256 vIdx=0 rIdx=3 oIdx=0 buffer=0 iui=0
_ds_load_u8 v[vgprValuB_X0_I0+1], v[vgprLocalReadAddrB] offset:20481 // L -> Reg lro=4096 swapByteOffset=16384 ti=256 vIdx=0 rIdx=0 oIdx=0 buffer=0 iui=0
_ds_load_u8 v56, v[vgprLocalReadAddrB] offset:20737 // L -> Reg lro=4096 swapByteOffset=16384 ti=256 vIdx=0 rIdx=1 oIdx=0 buffer=0 iui=0
_ds_load_u8_d16_hi v57, v[vgprLocalReadAddrB] offset:20993 // L -> Reg lro=4096 swapByteOffset=16384 ti=256 vIdx=0 rIdx=2 oIdx=0 buffer=0 iui=0
_ds_load_u8_d16_hi v58, v[vgprLocalReadAddrB] offset:21249 // L -> Reg lro=4096 swapByteOffset=16384 ti=256 vIdx=0 rIdx=3 oIdx=0 buffer=0 iui=0
/* pack scheduling: packAIdx:12, packBIdx:3 */
_v_lshl_or_b32 v[vgprValuB_X1_I0+3], v86, 0x8, v[vgprValuB_X1_I0+3] // pack two int8 Vgpr to one half Vgpr
_v_lshl_or_b32 v87, v88, 0x8, v87                  // pack two int8 Vgpr to one half Vgpr
v_or_b32 v[vgprValuB_X1_I0+3], v[vgprValuB_X1_I0+3], v87 // pack two half Vgpr to one Vgpr
v_mfma_i32_32x32x8i8 a[48+0:63+0], v[vgprValuA_X1_I0+3+0+0], v[vgprValuB_X1_I0+0+0+0], a[48:63]
/*  mfmaIndex:20  */
_ds_load_u8 v[vgprValuB_X0_I0+2], v[vgprLocalReadAddrB] offset:20482 // L -> Reg lro=4096 swapByteOffset=16384 ti=256 vIdx=0 rIdx=0 oIdx=0 buffer=0 iui=0
_ds_load_u8 v59, v[vgprLocalReadAddrB] offset:20738 // L -> Reg lro=4096 swapByteOffset=16384 ti=256 vIdx=0 rIdx=1 oIdx=0 buffer=0 iui=0
_ds_load_u8_d16_hi v60, v[vgprLocalReadAddrB] offset:20994 // L -> Reg lro=4096 swapByteOffset=16384 ti=256 vIdx=0 rIdx=2 oIdx=0 buffer=0 iui=0
_ds_load_u8_d16_hi v61, v[vgprLocalReadAddrB] offset:21250 // L -> Reg lro=4096 swapByteOffset=16384 ti=256 vIdx=0 rIdx=3 oIdx=0 buffer=0 iui=0
_ds_load_u8 v[vgprValuB_X0_I0+3], v[vgprLocalReadAddrB] offset:20483 // L -> Reg lro=4096 swapByteOffset=16384 ti=256 vIdx=0 rIdx=0 oIdx=0 buffer=0 iui=0
_ds_load_u8 v62, v[vgprLocalReadAddrB] offset:20739 // L -> Reg lro=4096 swapByteOffset=16384 ti=256 vIdx=0 rIdx=1 oIdx=0 buffer=0 iui=0
v_mfma_i32_32x32x8i8 a[112+0:127+0], v[vgprValuA_X1_I0+3+0+0], v[vgprValuB_X1_I0+1+0+0], a[112:127]
/*  mfmaIndex:21  */
_ds_load_u8_d16_hi v63, v[vgprLocalReadAddrB] offset:20995 // L -> Reg lro=4096 swapByteOffset=16384 ti=256 vIdx=0 rIdx=2 oIdx=0 buffer=0 iui=0
_ds_load_u8_d16_hi v64, v[vgprLocalReadAddrB] offset:21251 // L -> Reg lro=4096 swapByteOffset=16384 ti=256 vIdx=0 rIdx=3 oIdx=0 buffer=0 iui=0
/* localReadsVacancy: latencyLeft 9 */
v_mfma_i32_32x32x8i8 a[96+0:111+0], v[vgprValuA_X1_I0+2+0+0], v[vgprValuB_X1_I0+1+0+0], a[96:111]
/*  mfmaIndex:22  */
/* localReadsVacancy: latencyLeft 13 */
v_mfma_i32_32x32x8i8 a[80+0:95+0], v[vgprValuA_X1_I0+1+0+0], v[vgprValuB_X1_I0+1+0+0], a[80:95]
/*  mfmaIndex:23  */
	;; [unrolled: 3-line block ×10, first 2 shown]
/* localReadsVacancy: latencyLeft 13 */
v_mfma_i32_32x32x8i8 a[192+0:207+0], v[vgprValuA_X1_I0+0+0+0], v[vgprValuB_X1_I0+3+0+0], a[192:207]
/* numPrefetchIter=0 */
/* dataAtIterA=0 numReadsIterA=2 skipReadsIterA=1 readsPerIterA=16 */
/* dataAtIterB=0 numReadsIterB=2 skipReadsIterB=1 readsPerIterB=16 */


/* iter 2 (reset local read pointers iteration)  (swap local read pointers iteration)  */

/*  grEndMfmaIndex:3, lwStartMfmaIndex:52, lwEndMfmaIndex:55  */
/*  numMfmaForLR:6, barrierMfmaIndex:57 */
/*  mfmaIndex:32  */
_ds_load_u8 v[vgprValuA_X1_I0+0], v[vgprLocalReadAddrA] offset:22528 // L -> Reg lro=6144 swapByteOffset=16384 ti=256 vIdx=0 rIdx=0 oIdx=0 buffer=1 iui=0
_ds_load_u8 v65, v[vgprLocalReadAddrA] offset:22784 // L -> Reg lro=6144 swapByteOffset=16384 ti=256 vIdx=0 rIdx=1 oIdx=0 buffer=1 iui=0
_ds_load_u8_d16_hi v66, v[vgprLocalReadAddrA] offset:23040 // L -> Reg lro=6144 swapByteOffset=16384 ti=256 vIdx=0 rIdx=2 oIdx=0 buffer=1 iui=0
_ds_load_u8_d16_hi v67, v[vgprLocalReadAddrA] offset:23296 // L -> Reg lro=6144 swapByteOffset=16384 ti=256 vIdx=0 rIdx=3 oIdx=0 buffer=1 iui=0
_ds_load_u8 v[vgprValuB_X1_I0+0], v[vgprLocalReadAddrB] offset:22528 // L -> Reg lro=6144 swapByteOffset=16384 ti=256 vIdx=0 rIdx=0 oIdx=0 buffer=1 iui=0
_ds_load_u8 v77, v[vgprLocalReadAddrB] offset:22784 // L -> Reg lro=6144 swapByteOffset=16384 ti=256 vIdx=0 rIdx=1 oIdx=0 buffer=1 iui=0
s_waitcnt lgkmcnt(6)                               // lgkmcnt=0 vmcnt=-1wait for prior local read local write old=0, new=6 newLW=0 newLR=6
/* pack scheduling: packAIdx:3, packBIdx:3 */
_v_lshl_or_b32 v[vgprValuA_X0_I0+0], v41, 0x8, v[vgprValuA_X0_I0+0] // pack two int8 Vgpr to one half Vgpr
_v_lshl_or_b32 v42, v43, 0x8, v42                  // pack two int8 Vgpr to one half Vgpr
v_or_b32 v[vgprValuA_X0_I0+0], v[vgprValuA_X0_I0+0], v42 // pack two half Vgpr to one Vgpr
_v_lshl_or_b32 v[vgprValuB_X0_I0+0], v53, 0x8, v[vgprValuB_X0_I0+0] // pack two int8 Vgpr to one half Vgpr
_v_lshl_or_b32 v54, v55, 0x8, v54                  // pack two int8 Vgpr to one half Vgpr
v_or_b32 v[vgprValuB_X0_I0+0], v[vgprValuB_X0_I0+0], v54 // pack two half Vgpr to one Vgpr
_v_lshl_or_b32 v[vgprValuA_X0_I0+1], v44, 0x8, v[vgprValuA_X0_I0+1] // pack two int8 Vgpr to one half Vgpr
_v_lshl_or_b32 v45, v46, 0x8, v45                  // pack two int8 Vgpr to one half Vgpr
v_or_b32 v[vgprValuA_X0_I0+1], v[vgprValuA_X0_I0+1], v45 // pack two half Vgpr to one Vgpr
v_mfma_i32_32x32x8i8 a[0+0:15+0], v[vgprValuA_X0_I0+0+0+0], v[vgprValuB_X0_I0+0+0+0], a[0:15]
/*  mfmaIndex:33  */
_ds_load_u8_d16_hi v78, v[vgprLocalReadAddrB] offset:23040 // L -> Reg lro=6144 swapByteOffset=16384 ti=256 vIdx=0 rIdx=2 oIdx=0 buffer=1 iui=0
_ds_load_u8_d16_hi v79, v[vgprLocalReadAddrB] offset:23296 // L -> Reg lro=6144 swapByteOffset=16384 ti=256 vIdx=0 rIdx=3 oIdx=0 buffer=1 iui=0
_ds_load_u8 v[vgprValuA_X1_I0+1], v[vgprLocalReadAddrA] offset:22529 // L -> Reg lro=6144 swapByteOffset=16384 ti=256 vIdx=0 rIdx=0 oIdx=0 buffer=1 iui=0
_ds_load_u8 v68, v[vgprLocalReadAddrA] offset:22785 // L -> Reg lro=6144 swapByteOffset=16384 ti=256 vIdx=0 rIdx=1 oIdx=0 buffer=1 iui=0
_ds_load_u8_d16_hi v69, v[vgprLocalReadAddrA] offset:23041 // L -> Reg lro=6144 swapByteOffset=16384 ti=256 vIdx=0 rIdx=2 oIdx=0 buffer=1 iui=0
_ds_load_u8_d16_hi v70, v[vgprLocalReadAddrA] offset:23297 // L -> Reg lro=6144 swapByteOffset=16384 ti=256 vIdx=0 rIdx=3 oIdx=0 buffer=1 iui=0
/* pack scheduling: packAIdx:6, packBIdx:3 */
_v_lshl_or_b32 v[vgprValuA_X0_I0+2], v47, 0x8, v[vgprValuA_X0_I0+2] // pack two int8 Vgpr to one half Vgpr
_v_lshl_or_b32 v48, v49, 0x8, v48                  // pack two int8 Vgpr to one half Vgpr
v_or_b32 v[vgprValuA_X0_I0+2], v[vgprValuA_X0_I0+2], v48 // pack two half Vgpr to one Vgpr
_v_lshl_or_b32 v[vgprValuA_X0_I0+3], v50, 0x8, v[vgprValuA_X0_I0+3] // pack two int8 Vgpr to one half Vgpr
_v_lshl_or_b32 v51, v52, 0x8, v51                  // pack two int8 Vgpr to one half Vgpr
v_or_b32 v[vgprValuA_X0_I0+3], v[vgprValuA_X0_I0+3], v51 // pack two half Vgpr to one Vgpr
v_mfma_i32_32x32x8i8 a[16+0:31+0], v[vgprValuA_X0_I0+1+0+0], v[vgprValuB_X0_I0+0+0+0], a[16:31]
/*  mfmaIndex:34  */
_ds_load_u8 v[vgprValuA_X1_I0+2], v[vgprLocalReadAddrA] offset:22530 // L -> Reg lro=6144 swapByteOffset=16384 ti=256 vIdx=0 rIdx=0 oIdx=0 buffer=1 iui=0
_ds_load_u8 v71, v[vgprLocalReadAddrA] offset:22786 // L -> Reg lro=6144 swapByteOffset=16384 ti=256 vIdx=0 rIdx=1 oIdx=0 buffer=1 iui=0
_ds_load_u8_d16_hi v72, v[vgprLocalReadAddrA] offset:23042 // L -> Reg lro=6144 swapByteOffset=16384 ti=256 vIdx=0 rIdx=2 oIdx=0 buffer=1 iui=0
_ds_load_u8_d16_hi v73, v[vgprLocalReadAddrA] offset:23298 // L -> Reg lro=6144 swapByteOffset=16384 ti=256 vIdx=0 rIdx=3 oIdx=0 buffer=1 iui=0
_ds_load_u8 v[vgprValuA_X1_I0+3], v[vgprLocalReadAddrA] offset:22531 // L -> Reg lro=6144 swapByteOffset=16384 ti=256 vIdx=0 rIdx=0 oIdx=0 buffer=1 iui=0
_ds_load_u8 v74, v[vgprLocalReadAddrA] offset:22787 // L -> Reg lro=6144 swapByteOffset=16384 ti=256 vIdx=0 rIdx=1 oIdx=0 buffer=1 iui=0
/* pack scheduling: packAIdx:9, packBIdx:3 */
_v_lshl_or_b32 v[vgprValuB_X0_I0+1], v56, 0x8, v[vgprValuB_X0_I0+1] // pack two int8 Vgpr to one half Vgpr
_v_lshl_or_b32 v57, v58, 0x8, v57                  // pack two int8 Vgpr to one half Vgpr
v_or_b32 v[vgprValuB_X0_I0+1], v[vgprValuB_X0_I0+1], v57 // pack two half Vgpr to one Vgpr
_v_lshl_or_b32 v[vgprValuB_X0_I0+2], v59, 0x8, v[vgprValuB_X0_I0+2] // pack two int8 Vgpr to one half Vgpr
_v_lshl_or_b32 v60, v61, 0x8, v60                  // pack two int8 Vgpr to one half Vgpr
v_or_b32 v[vgprValuB_X0_I0+2], v[vgprValuB_X0_I0+2], v60 // pack two half Vgpr to one Vgpr
v_mfma_i32_32x32x8i8 a[32+0:47+0], v[vgprValuA_X0_I0+2+0+0], v[vgprValuB_X0_I0+0+0+0], a[32:47]
/*  mfmaIndex:35  */
_ds_load_u8_d16_hi v75, v[vgprLocalReadAddrA] offset:23043 // L -> Reg lro=6144 swapByteOffset=16384 ti=256 vIdx=0 rIdx=2 oIdx=0 buffer=1 iui=0
_ds_load_u8_d16_hi v76, v[vgprLocalReadAddrA] offset:23299 // L -> Reg lro=6144 swapByteOffset=16384 ti=256 vIdx=0 rIdx=3 oIdx=0 buffer=1 iui=0
_ds_load_u8 v[vgprValuB_X1_I0+1], v[vgprLocalReadAddrB] offset:22529 // L -> Reg lro=6144 swapByteOffset=16384 ti=256 vIdx=0 rIdx=0 oIdx=0 buffer=1 iui=0
_ds_load_u8 v80, v[vgprLocalReadAddrB] offset:22785 // L -> Reg lro=6144 swapByteOffset=16384 ti=256 vIdx=0 rIdx=1 oIdx=0 buffer=1 iui=0
_ds_load_u8_d16_hi v81, v[vgprLocalReadAddrB] offset:23041 // L -> Reg lro=6144 swapByteOffset=16384 ti=256 vIdx=0 rIdx=2 oIdx=0 buffer=1 iui=0
_ds_load_u8_d16_hi v82, v[vgprLocalReadAddrB] offset:23297 // L -> Reg lro=6144 swapByteOffset=16384 ti=256 vIdx=0 rIdx=3 oIdx=0 buffer=1 iui=0
/* pack scheduling: packAIdx:12, packBIdx:3 */
_v_lshl_or_b32 v[vgprValuB_X0_I0+3], v62, 0x8, v[vgprValuB_X0_I0+3] // pack two int8 Vgpr to one half Vgpr
_v_lshl_or_b32 v63, v64, 0x8, v63                  // pack two int8 Vgpr to one half Vgpr
v_or_b32 v[vgprValuB_X0_I0+3], v[vgprValuB_X0_I0+3], v63 // pack two half Vgpr to one Vgpr
v_mfma_i32_32x32x8i8 a[48+0:63+0], v[vgprValuA_X0_I0+3+0+0], v[vgprValuB_X0_I0+0+0+0], a[48:63]
/*  mfmaIndex:36  */
_ds_load_u8 v[vgprValuB_X1_I0+2], v[vgprLocalReadAddrB] offset:22530 // L -> Reg lro=6144 swapByteOffset=16384 ti=256 vIdx=0 rIdx=0 oIdx=0 buffer=1 iui=0
_ds_load_u8 v83, v[vgprLocalReadAddrB] offset:22786 // L -> Reg lro=6144 swapByteOffset=16384 ti=256 vIdx=0 rIdx=1 oIdx=0 buffer=1 iui=0
_ds_load_u8_d16_hi v84, v[vgprLocalReadAddrB] offset:23042 // L -> Reg lro=6144 swapByteOffset=16384 ti=256 vIdx=0 rIdx=2 oIdx=0 buffer=1 iui=0
_ds_load_u8_d16_hi v85, v[vgprLocalReadAddrB] offset:23298 // L -> Reg lro=6144 swapByteOffset=16384 ti=256 vIdx=0 rIdx=3 oIdx=0 buffer=1 iui=0
_ds_load_u8 v[vgprValuB_X1_I0+3], v[vgprLocalReadAddrB] offset:22531 // L -> Reg lro=6144 swapByteOffset=16384 ti=256 vIdx=0 rIdx=0 oIdx=0 buffer=1 iui=0
_ds_load_u8 v86, v[vgprLocalReadAddrB] offset:22787 // L -> Reg lro=6144 swapByteOffset=16384 ti=256 vIdx=0 rIdx=1 oIdx=0 buffer=1 iui=0
v_mfma_i32_32x32x8i8 a[112+0:127+0], v[vgprValuA_X0_I0+3+0+0], v[vgprValuB_X0_I0+1+0+0], a[112:127]
/*  mfmaIndex:37  */
_ds_load_u8_d16_hi v87, v[vgprLocalReadAddrB] offset:23043 // L -> Reg lro=6144 swapByteOffset=16384 ti=256 vIdx=0 rIdx=2 oIdx=0 buffer=1 iui=0
_ds_load_u8_d16_hi v88, v[vgprLocalReadAddrB] offset:23299 // L -> Reg lro=6144 swapByteOffset=16384 ti=256 vIdx=0 rIdx=3 oIdx=0 buffer=1 iui=0
/* localReadsVacancy: latencyLeft 9 */
v_mfma_i32_32x32x8i8 a[96+0:111+0], v[vgprValuA_X0_I0+2+0+0], v[vgprValuB_X0_I0+1+0+0], a[96:111]
/*  mfmaIndex:38  */
/* localReadsVacancy: latencyLeft 13 */
v_mfma_i32_32x32x8i8 a[80+0:95+0], v[vgprValuA_X0_I0+1+0+0], v[vgprValuB_X0_I0+1+0+0], a[80:95]
/*  mfmaIndex:39  */
	;; [unrolled: 3-line block ×10, first 2 shown]
/* localReadsVacancy: latencyLeft 13 */

/* local read swap offsets a */

/* local read swap internal offset -> 0 */

/* local read swap offsets b */

/* local read swap internal offset -> 0 */

/* local read init pointers a */

/* localReadInitPointers */

/* local read init pointers b */

/* localReadInitPointers */
v_mfma_i32_32x32x8i8 a[192+0:207+0], v[vgprValuA_X0_I0+0+0+0], v[vgprValuB_X0_I0+3+0+0], a[192:207]
/* numPrefetchIter=0 */
/* dataAtIterA=1 numReadsIterA=3 skipReadsIterA=1 readsPerIterA=16 */
/* dataAtIterB=1 numReadsIterB=3 skipReadsIterB=1 readsPerIterB=16 */


/* iter 3 (swap and reset local write pointers iteration)  */

/*  grEndMfmaIndex:3, lwStartMfmaIndex:52, lwEndMfmaIndex:55  */
/*  numMfmaForLR:6, barrierMfmaIndex:57 */
/*  mfmaIndex:48  */
s_waitcnt lgkmcnt(0)                               // lgkmcnt=0 vmcnt=-1wait for prior local read local write old=0, new=0 newLW=0 newLR=0
/* pack scheduling: packAIdx:3, packBIdx:3 */
_v_lshl_or_b32 v[vgprValuA_X1_I0+0], v65, 0x8, v[vgprValuA_X1_I0+0] // pack two int8 Vgpr to one half Vgpr
_v_lshl_or_b32 v66, v67, 0x8, v66                  // pack two int8 Vgpr to one half Vgpr
v_or_b32 v[vgprValuA_X1_I0+0], v[vgprValuA_X1_I0+0], v66 // pack two half Vgpr to one Vgpr
_v_lshl_or_b32 v[vgprValuB_X1_I0+0], v77, 0x8, v[vgprValuB_X1_I0+0] // pack two int8 Vgpr to one half Vgpr
_v_lshl_or_b32 v78, v79, 0x8, v78                  // pack two int8 Vgpr to one half Vgpr
v_or_b32 v[vgprValuB_X1_I0+0], v[vgprValuB_X1_I0+0], v78 // pack two half Vgpr to one Vgpr
_v_lshl_or_b32 v[vgprValuA_X1_I0+1], v68, 0x8, v[vgprValuA_X1_I0+1] // pack two int8 Vgpr to one half Vgpr
_v_lshl_or_b32 v69, v70, 0x8, v69                  // pack two int8 Vgpr to one half Vgpr
v_or_b32 v[vgprValuA_X1_I0+1], v[vgprValuA_X1_I0+1], v69 // pack two half Vgpr to one Vgpr
v_mfma_i32_32x32x8i8 a[0+0:15+0], v[vgprValuA_X1_I0+0+0+0], v[vgprValuB_X1_I0+0+0+0], a[0:15]
/*  mfmaIndex:49  */
/* pack scheduling: packAIdx:6, packBIdx:3 */
_v_lshl_or_b32 v[vgprValuA_X1_I0+2], v71, 0x8, v[vgprValuA_X1_I0+2] // pack two int8 Vgpr to one half Vgpr
_v_lshl_or_b32 v72, v73, 0x8, v72                  // pack two int8 Vgpr to one half Vgpr
v_or_b32 v[vgprValuA_X1_I0+2], v[vgprValuA_X1_I0+2], v72 // pack two half Vgpr to one Vgpr
_v_lshl_or_b32 v[vgprValuA_X1_I0+3], v74, 0x8, v[vgprValuA_X1_I0+3] // pack two int8 Vgpr to one half Vgpr
_v_lshl_or_b32 v75, v76, 0x8, v75                  // pack two int8 Vgpr to one half Vgpr
v_or_b32 v[vgprValuA_X1_I0+3], v[vgprValuA_X1_I0+3], v75 // pack two half Vgpr to one Vgpr
v_mfma_i32_32x32x8i8 a[16+0:31+0], v[vgprValuA_X1_I0+1+0+0], v[vgprValuB_X1_I0+0+0+0], a[16:31]
/*  mfmaIndex:50  */
/* pack scheduling: packAIdx:9, packBIdx:3 */
_v_lshl_or_b32 v[vgprValuB_X1_I0+1], v80, 0x8, v[vgprValuB_X1_I0+1] // pack two int8 Vgpr to one half Vgpr
_v_lshl_or_b32 v81, v82, 0x8, v81                  // pack two int8 Vgpr to one half Vgpr
v_or_b32 v[vgprValuB_X1_I0+1], v[vgprValuB_X1_I0+1], v81 // pack two half Vgpr to one Vgpr
_v_lshl_or_b32 v[vgprValuB_X1_I0+2], v83, 0x8, v[vgprValuB_X1_I0+2] // pack two int8 Vgpr to one half Vgpr
_v_lshl_or_b32 v84, v85, 0x8, v84                  // pack two int8 Vgpr to one half Vgpr
v_or_b32 v[vgprValuB_X1_I0+2], v[vgprValuB_X1_I0+2], v84 // pack two half Vgpr to one Vgpr
v_mfma_i32_32x32x8i8 a[32+0:47+0], v[vgprValuA_X1_I0+2+0+0], v[vgprValuB_X1_I0+0+0+0], a[32:47]
/*  mfmaIndex:51  */
/* pack scheduling: packAIdx:12, packBIdx:3 */
_v_lshl_or_b32 v[vgprValuB_X1_I0+3], v86, 0x8, v[vgprValuB_X1_I0+3] // pack two int8 Vgpr to one half Vgpr
_v_lshl_or_b32 v87, v88, 0x8, v87                  // pack two int8 Vgpr to one half Vgpr
v_or_b32 v[vgprValuB_X1_I0+3], v[vgprValuB_X1_I0+3], v87 // pack two half Vgpr to one Vgpr
v_mfma_i32_32x32x8i8 a[48+0:63+0], v[vgprValuA_X1_I0+3+0+0], v[vgprValuB_X1_I0+0+0+0], a[48:63]
/*  mfmaIndex:52  */
/* sched write - iter 3 writesPerItem=1 */
s_waitcnt vmcnt(0)                                 // lgkmcnt=-1 vmcnt=0wait for global read before writing to local
_ds_store_b128 v[vgprLocalWriteAddrA], v[vgprG2LA+0:vgprG2LA+0+3] offset:0 // lwoA_0_0_0_0 = (0*LSCA) + (0*LSPA)(*MT0I+PAD) = 0
v_mfma_i32_32x32x8i8 a[112+0:127+0], v[vgprValuA_X1_I0+3+0+0], v[vgprValuB_X1_I0+1+0+0], a[112:127]
/*  mfmaIndex:53  */
/* sched write - iter 3 writesPerItem=1 */
s_waitcnt vmcnt(0)                                 // lgkmcnt=-1 vmcnt=0wait for global read before writing to local
_ds_store_b128 v[vgprLocalWriteAddrA], v[vgprG2LA+4:vgprG2LA+4+3] offset:1024 // lwoA_0_0_1_0 = (0*LSCA) + (1*LSPA)(*MT0I+PAD) = 1024
v_mfma_i32_32x32x8i8 a[96+0:111+0], v[vgprValuA_X1_I0+2+0+0], v[vgprValuB_X1_I0+1+0+0], a[96:111]
/*  mfmaIndex:54  */
/* sched write - iter 3 writesPerItem=1 */
s_waitcnt vmcnt(0)                                 // lgkmcnt=-1 vmcnt=0wait for global read before writing to local
_ds_store_b128 v[vgprLocalWriteAddrB], v[vgprG2LB+0:vgprG2LB+0+3] offset:0 // lwoB_0_0_0_0 = (0*LSCB) + (0*LSPB)(*MT1J+PAD) = 0
v_mfma_i32_32x32x8i8 a[80+0:95+0], v[vgprValuA_X1_I0+1+0+0], v[vgprValuB_X1_I0+1+0+0], a[80:95]
/*  mfmaIndex:55  */
/* sched write - iter 3 writesPerItem=1 */
s_waitcnt vmcnt(0)                                 // lgkmcnt=-1 vmcnt=0wait for global read before writing to local
_ds_store_b128 v[vgprLocalWriteAddrB], v[vgprG2LB+4:vgprG2LB+4+3] offset:1024 // lwoB_0_0_1_0 = (0*LSCB) + (1*LSPB)(*MT1J+PAD) = 1024

/* local write swap offsets a */

/* (EPS=1) local write swap internal offset -> 16384 */

/* local write swap offsets b */

/* (EPS=1) local write swap internal offset -> 16384 */
v_mfma_i32_32x32x8i8 a[64+0:79+0], v[vgprValuA_X1_I0+0+0+0], v[vgprValuB_X1_I0+1+0+0], a[64:79]
/*  mfmaIndex:56  */
v_mfma_i32_32x32x8i8 a[128+0:143+0], v[vgprValuA_X1_I0+0+0+0], v[vgprValuB_X1_I0+2+0+0], a[128:143]
/*  mfmaIndex:57  */
s_waitcnt lgkmcnt(0)                               // lgkmcnt=0 vmcnt=-13wait for local write
s_waitcnt lgkmcnt(0) & vmcnt(0)                    // force waitcnt0
s_barrier //
v_mfma_i32_32x32x8i8 a[144+0:159+0], v[vgprValuA_X1_I0+1+0+0], v[vgprValuB_X1_I0+2+0+0], a[144:159]
/*  mfmaIndex:58  */
_ds_load_u8 v[vgprValuA_X0_I0+0], v[vgprLocalReadAddrA] offset:0 // L -> Reg lro=0 swapByteOffset=0 ti=256 vIdx=0 rIdx=0 oIdx=0 buffer=0 iui=0
_ds_load_u8 v41, v[vgprLocalReadAddrA] offset:256  // L -> Reg lro=0 swapByteOffset=0 ti=256 vIdx=0 rIdx=1 oIdx=0 buffer=0 iui=0
_ds_load_u8_d16_hi v42, v[vgprLocalReadAddrA] offset:512 // L -> Reg lro=0 swapByteOffset=0 ti=256 vIdx=0 rIdx=2 oIdx=0 buffer=0 iui=0
_ds_load_u8_d16_hi v43, v[vgprLocalReadAddrA] offset:768 // L -> Reg lro=0 swapByteOffset=0 ti=256 vIdx=0 rIdx=3 oIdx=0 buffer=0 iui=0
_ds_load_u8 v[vgprValuB_X0_I0+0], v[vgprLocalReadAddrB] offset:0 // L -> Reg lro=0 swapByteOffset=0 ti=256 vIdx=0 rIdx=0 oIdx=0 buffer=0 iui=0
_ds_load_u8 v53, v[vgprLocalReadAddrB] offset:256  // L -> Reg lro=0 swapByteOffset=0 ti=256 vIdx=0 rIdx=1 oIdx=0 buffer=0 iui=0
v_mfma_i32_32x32x8i8 a[160+0:175+0], v[vgprValuA_X1_I0+2+0+0], v[vgprValuB_X1_I0+2+0+0], a[160:175]
/*  mfmaIndex:59  */
_ds_load_u8_d16_hi v54, v[vgprLocalReadAddrB] offset:512 // L -> Reg lro=0 swapByteOffset=0 ti=256 vIdx=0 rIdx=2 oIdx=0 buffer=0 iui=0
_ds_load_u8_d16_hi v55, v[vgprLocalReadAddrB] offset:768 // L -> Reg lro=0 swapByteOffset=0 ti=256 vIdx=0 rIdx=3 oIdx=0 buffer=0 iui=0
_ds_load_u8 v[vgprValuA_X0_I0+1], v[vgprLocalReadAddrA] offset:1 // L -> Reg lro=0 swapByteOffset=0 ti=256 vIdx=0 rIdx=0 oIdx=0 buffer=0 iui=0
_ds_load_u8 v44, v[vgprLocalReadAddrA] offset:257  // L -> Reg lro=0 swapByteOffset=0 ti=256 vIdx=0 rIdx=1 oIdx=0 buffer=0 iui=0
_ds_load_u8_d16_hi v45, v[vgprLocalReadAddrA] offset:513 // L -> Reg lro=0 swapByteOffset=0 ti=256 vIdx=0 rIdx=2 oIdx=0 buffer=0 iui=0
_ds_load_u8_d16_hi v46, v[vgprLocalReadAddrA] offset:769 // L -> Reg lro=0 swapByteOffset=0 ti=256 vIdx=0 rIdx=3 oIdx=0 buffer=0 iui=0
v_mfma_i32_32x32x8i8 a[176+0:191+0], v[vgprValuA_X1_I0+3+0+0], v[vgprValuB_X1_I0+2+0+0], a[176:191]
/*  mfmaIndex:60  */
_ds_load_u8 v[vgprValuA_X0_I0+2], v[vgprLocalReadAddrA] offset:2 // L -> Reg lro=0 swapByteOffset=0 ti=256 vIdx=0 rIdx=0 oIdx=0 buffer=0 iui=0
_ds_load_u8 v47, v[vgprLocalReadAddrA] offset:258  // L -> Reg lro=0 swapByteOffset=0 ti=256 vIdx=0 rIdx=1 oIdx=0 buffer=0 iui=0
_ds_load_u8_d16_hi v48, v[vgprLocalReadAddrA] offset:514 // L -> Reg lro=0 swapByteOffset=0 ti=256 vIdx=0 rIdx=2 oIdx=0 buffer=0 iui=0
_ds_load_u8_d16_hi v49, v[vgprLocalReadAddrA] offset:770 // L -> Reg lro=0 swapByteOffset=0 ti=256 vIdx=0 rIdx=3 oIdx=0 buffer=0 iui=0
_ds_load_u8 v[vgprValuA_X0_I0+3], v[vgprLocalReadAddrA] offset:3 // L -> Reg lro=0 swapByteOffset=0 ti=256 vIdx=0 rIdx=0 oIdx=0 buffer=0 iui=0
_ds_load_u8 v50, v[vgprLocalReadAddrA] offset:259  // L -> Reg lro=0 swapByteOffset=0 ti=256 vIdx=0 rIdx=1 oIdx=0 buffer=0 iui=0
v_mfma_i32_32x32x8i8 a[240+0:255+0], v[vgprValuA_X1_I0+3+0+0], v[vgprValuB_X1_I0+3+0+0], a[240:255]
/*  mfmaIndex:61  */
_ds_load_u8_d16_hi v51, v[vgprLocalReadAddrA] offset:515 // L -> Reg lro=0 swapByteOffset=0 ti=256 vIdx=0 rIdx=2 oIdx=0 buffer=0 iui=0
_ds_load_u8_d16_hi v52, v[vgprLocalReadAddrA] offset:771 // L -> Reg lro=0 swapByteOffset=0 ti=256 vIdx=0 rIdx=3 oIdx=0 buffer=0 iui=0
_ds_load_u8 v[vgprValuB_X0_I0+1], v[vgprLocalReadAddrB] offset:1 // L -> Reg lro=0 swapByteOffset=0 ti=256 vIdx=0 rIdx=0 oIdx=0 buffer=0 iui=0
_ds_load_u8 v56, v[vgprLocalReadAddrB] offset:257  // L -> Reg lro=0 swapByteOffset=0 ti=256 vIdx=0 rIdx=1 oIdx=0 buffer=0 iui=0
_ds_load_u8_d16_hi v57, v[vgprLocalReadAddrB] offset:513 // L -> Reg lro=0 swapByteOffset=0 ti=256 vIdx=0 rIdx=2 oIdx=0 buffer=0 iui=0
_ds_load_u8_d16_hi v58, v[vgprLocalReadAddrB] offset:769 // L -> Reg lro=0 swapByteOffset=0 ti=256 vIdx=0 rIdx=3 oIdx=0 buffer=0 iui=0
v_mfma_i32_32x32x8i8 a[224+0:239+0], v[vgprValuA_X1_I0+2+0+0], v[vgprValuB_X1_I0+3+0+0], a[224:239]
/*  mfmaIndex:62  */
_ds_load_u8 v[vgprValuB_X0_I0+2], v[vgprLocalReadAddrB] offset:2 // L -> Reg lro=0 swapByteOffset=0 ti=256 vIdx=0 rIdx=0 oIdx=0 buffer=0 iui=0
_ds_load_u8 v59, v[vgprLocalReadAddrB] offset:258  // L -> Reg lro=0 swapByteOffset=0 ti=256 vIdx=0 rIdx=1 oIdx=0 buffer=0 iui=0
_ds_load_u8_d16_hi v60, v[vgprLocalReadAddrB] offset:514 // L -> Reg lro=0 swapByteOffset=0 ti=256 vIdx=0 rIdx=2 oIdx=0 buffer=0 iui=0
_ds_load_u8_d16_hi v61, v[vgprLocalReadAddrB] offset:770 // L -> Reg lro=0 swapByteOffset=0 ti=256 vIdx=0 rIdx=3 oIdx=0 buffer=0 iui=0
_ds_load_u8 v[vgprValuB_X0_I0+3], v[vgprLocalReadAddrB] offset:3 // L -> Reg lro=0 swapByteOffset=0 ti=256 vIdx=0 rIdx=0 oIdx=0 buffer=0 iui=0
_ds_load_u8 v62, v[vgprLocalReadAddrB] offset:259  // L -> Reg lro=0 swapByteOffset=0 ti=256 vIdx=0 rIdx=1 oIdx=0 buffer=0 iui=0
v_mfma_i32_32x32x8i8 a[208+0:223+0], v[vgprValuA_X1_I0+1+0+0], v[vgprValuB_X1_I0+3+0+0], a[208:223]
/*  mfmaIndex:63  */
_ds_load_u8_d16_hi v63, v[vgprLocalReadAddrB] offset:515 // L -> Reg lro=0 swapByteOffset=0 ti=256 vIdx=0 rIdx=2 oIdx=0 buffer=0 iui=0
_ds_load_u8_d16_hi v64, v[vgprLocalReadAddrB] offset:771 // L -> Reg lro=0 swapByteOffset=0 ti=256 vIdx=0 rIdx=3 oIdx=0 buffer=0 iui=0
v_mfma_i32_32x32x8i8 a[192+0:207+0], v[vgprValuA_X1_I0+0+0+0], v[vgprValuB_X1_I0+3+0+0], a[192:207]
/* numPrefetchIter=1 */
/* dataAtIterA=2 numReadsIterA=3 skipReadsIterA=1 readsPerIterA=16 */
/* dataAtIterB=2 numReadsIterB=3 skipReadsIterB=1 readsPerIterB=16 */


/******************************************/
/* Unrolled Loop - End 2/2 (final)        */
/******************************************/


/* closeLoop loopL finalLoop=1 tailLoop=0 */
s_sub_u32 s[sgprLoopCounterL], s[sgprLoopCounterL], 1 // dec counterL
s_cmp_eq_i32 s[sgprLoopCounterL], 0x1              // counterL==1
s_cbranch_scc0 LoopBeginL_1                        // restart LoopL
LoopEndL_evenexit_4: // unroll loop eveniter exit
s_branch LoopEndL_2                                // exit unroll loopL (and skip second exit code)
LoopEndL_oddexit_3: // unroll loop odditer exit

/* Select high bank of LDS */
v_xor_b32 v[vgprLocalReadAddrA], 0x4000, v[vgprLocalReadAddrA] // swap Red Blk
v_xor_b32 v[vgprLocalReadAddrB], 0x4000, v[vgprLocalReadAddrB] // swap Red Blk
LoopEndL_2:


/* Before NLL: Check VGPR.checkin for INT8 LW */


/******************************************/
/* Opt. NoLoadLoop Without PAP - Begin                                      */
/******************************************/

s_cmpk_eq_u32 s[sgprBeta], 0x0                     // Beta == 0
s_cbranch_scc0 OptNLL_End_18                       // Branch if Beta is not zero

s_cmp_eq_u32 s[sgprAlpha], 1                       // Alpha == 1.0 ?
s_cbranch_scc0 OptNLL_End_18                       // branch if alpha != 1

s_and_b32 s64, 255, s[sgprSizeI]                   // s64 = s[sgprSizeI] % 256
s_add_u32 s65, -0x1, s[sgprNumWorkGroups0]         // 
s_cmp_ge_u32 s[sgprWorkGroup0], s65                // wg0 >= nwg0-1 ?
s_cselect_b32 s64, s64, 0                          // set rMT0
s_cmpk_gt_u32 s64, 0x0                             // rMT0 > 0
s_cbranch_scc1 OptNLL_End_18                       // jump if edges required
s_and_b32 s64, 255, s[sgprSizeJ]                   // s64 = s[sgprSizeJ] % 256
s_add_u32 s65, -0x1, s[sgprNumWorkGroups1]         // 
s_cmp_ge_u32 s[sgprWorkGroup1], s65                // wg1 >= nwg1-1
s_cselect_b32 s64, s64, 0                          // set rMT1
s_cmpk_gt_u32 s64, 0x0                             // rMT1 > 0
s_cbranch_scc1 OptNLL_End_18                       // jump if edges required

s_and_b32 s65, 31, s[sgprSizesSum+0]               // s65 = s[sgprSizesSum+0] % 32
s_cmp_eq_u32 s65, 0x0                              // numIterL == 0
s_cbranch_scc0 OptNLL_End_18                       // skip if tail loop required


	;; [unrolled: 1-line block ×3, first 2 shown]
/* iter 0 (last unrolled loop) */

/*  grEndMfmaIndex:0, lwStartMfmaIndex:55, lwEndMfmaIndex:55  */
/*  numMfmaForLR:6, barrierMfmaIndex:57 */
/*  mfmaIndex:0  */
s_waitcnt lgkmcnt(0)                               // lgkmcnt=0 vmcnt=-1wait for prior local read local write old=0, new=0 newLW=0 newLR=0
/* pack scheduling: packAIdx:3, packBIdx:3 */
_v_lshl_or_b32 v[vgprValuA_X0_I0+0], v41, 0x8, v[vgprValuA_X0_I0+0] // pack two int8 Vgpr to one half Vgpr
_v_lshl_or_b32 v42, v43, 0x8, v42                  // pack two int8 Vgpr to one half Vgpr
v_or_b32 v[vgprValuA_X0_I0+0], v[vgprValuA_X0_I0+0], v42 // pack two half Vgpr to one Vgpr
_v_lshl_or_b32 v[vgprValuB_X0_I0+0], v53, 0x8, v[vgprValuB_X0_I0+0] // pack two int8 Vgpr to one half Vgpr
_v_lshl_or_b32 v54, v55, 0x8, v54                  // pack two int8 Vgpr to one half Vgpr
v_or_b32 v[vgprValuB_X0_I0+0], v[vgprValuB_X0_I0+0], v54 // pack two half Vgpr to one Vgpr
_v_lshl_or_b32 v[vgprValuA_X0_I0+1], v44, 0x8, v[vgprValuA_X0_I0+1] // pack two int8 Vgpr to one half Vgpr
_v_lshl_or_b32 v45, v46, 0x8, v45                  // pack two int8 Vgpr to one half Vgpr
v_or_b32 v[vgprValuA_X0_I0+1], v[vgprValuA_X0_I0+1], v45 // pack two half Vgpr to one Vgpr
v_mfma_i32_32x32x8i8 a[0+0:15+0], v[vgprValuA_X0_I0+0+0+0], v[vgprValuB_X0_I0+0+0+0], a[0:15]
/*  mfmaIndex:1  */
_ds_load_u8 v[vgprValuA_X1_I0+0], v[vgprLocalReadAddrA] offset:2048 // L -> Reg lro=2048 swapByteOffset=0 ti=256 vIdx=0 rIdx=0 oIdx=0 buffer=1 iui=0
_ds_load_u8 v65, v[vgprLocalReadAddrA] offset:2304 // L -> Reg lro=2048 swapByteOffset=0 ti=256 vIdx=0 rIdx=1 oIdx=0 buffer=1 iui=0
_ds_load_u8_d16_hi v66, v[vgprLocalReadAddrA] offset:2560 // L -> Reg lro=2048 swapByteOffset=0 ti=256 vIdx=0 rIdx=2 oIdx=0 buffer=1 iui=0
_ds_load_u8_d16_hi v67, v[vgprLocalReadAddrA] offset:2816 // L -> Reg lro=2048 swapByteOffset=0 ti=256 vIdx=0 rIdx=3 oIdx=0 buffer=1 iui=0
_ds_load_u8 v[vgprValuB_X1_I0+0], v[vgprLocalReadAddrB] offset:2048 // L -> Reg lro=2048 swapByteOffset=0 ti=256 vIdx=0 rIdx=0 oIdx=0 buffer=1 iui=0
_ds_load_u8 v77, v[vgprLocalReadAddrB] offset:2304 // L -> Reg lro=2048 swapByteOffset=0 ti=256 vIdx=0 rIdx=1 oIdx=0 buffer=1 iui=0
/* pack scheduling: packAIdx:6, packBIdx:3 */
_v_lshl_or_b32 v[vgprValuA_X0_I0+2], v47, 0x8, v[vgprValuA_X0_I0+2] // pack two int8 Vgpr to one half Vgpr
_v_lshl_or_b32 v48, v49, 0x8, v48                  // pack two int8 Vgpr to one half Vgpr
v_or_b32 v[vgprValuA_X0_I0+2], v[vgprValuA_X0_I0+2], v48 // pack two half Vgpr to one Vgpr
_v_lshl_or_b32 v[vgprValuA_X0_I0+3], v50, 0x8, v[vgprValuA_X0_I0+3] // pack two int8 Vgpr to one half Vgpr
_v_lshl_or_b32 v51, v52, 0x8, v51                  // pack two int8 Vgpr to one half Vgpr
v_or_b32 v[vgprValuA_X0_I0+3], v[vgprValuA_X0_I0+3], v51 // pack two half Vgpr to one Vgpr
v_mfma_i32_32x32x8i8 a[16+0:31+0], v[vgprValuA_X0_I0+1+0+0], v[vgprValuB_X0_I0+0+0+0], a[16:31]
/*  mfmaIndex:2  */
_ds_load_u8_d16_hi v78, v[vgprLocalReadAddrB] offset:2560 // L -> Reg lro=2048 swapByteOffset=0 ti=256 vIdx=0 rIdx=2 oIdx=0 buffer=1 iui=0
_ds_load_u8_d16_hi v79, v[vgprLocalReadAddrB] offset:2816 // L -> Reg lro=2048 swapByteOffset=0 ti=256 vIdx=0 rIdx=3 oIdx=0 buffer=1 iui=0
_ds_load_u8 v[vgprValuA_X1_I0+1], v[vgprLocalReadAddrA] offset:2049 // L -> Reg lro=2048 swapByteOffset=0 ti=256 vIdx=0 rIdx=0 oIdx=0 buffer=1 iui=0
_ds_load_u8 v68, v[vgprLocalReadAddrA] offset:2305 // L -> Reg lro=2048 swapByteOffset=0 ti=256 vIdx=0 rIdx=1 oIdx=0 buffer=1 iui=0
_ds_load_u8_d16_hi v69, v[vgprLocalReadAddrA] offset:2561 // L -> Reg lro=2048 swapByteOffset=0 ti=256 vIdx=0 rIdx=2 oIdx=0 buffer=1 iui=0
_ds_load_u8_d16_hi v70, v[vgprLocalReadAddrA] offset:2817 // L -> Reg lro=2048 swapByteOffset=0 ti=256 vIdx=0 rIdx=3 oIdx=0 buffer=1 iui=0
/* pack scheduling: packAIdx:9, packBIdx:3 */
_v_lshl_or_b32 v[vgprValuB_X0_I0+1], v56, 0x8, v[vgprValuB_X0_I0+1] // pack two int8 Vgpr to one half Vgpr
_v_lshl_or_b32 v57, v58, 0x8, v57                  // pack two int8 Vgpr to one half Vgpr
v_or_b32 v[vgprValuB_X0_I0+1], v[vgprValuB_X0_I0+1], v57 // pack two half Vgpr to one Vgpr
_v_lshl_or_b32 v[vgprValuB_X0_I0+2], v59, 0x8, v[vgprValuB_X0_I0+2] // pack two int8 Vgpr to one half Vgpr
_v_lshl_or_b32 v60, v61, 0x8, v60                  // pack two int8 Vgpr to one half Vgpr
v_or_b32 v[vgprValuB_X0_I0+2], v[vgprValuB_X0_I0+2], v60 // pack two half Vgpr to one Vgpr
v_mfma_i32_32x32x8i8 a[32+0:47+0], v[vgprValuA_X0_I0+2+0+0], v[vgprValuB_X0_I0+0+0+0], a[32:47]
/*  mfmaIndex:3  */
_ds_load_u8 v[vgprValuA_X1_I0+2], v[vgprLocalReadAddrA] offset:2050 // L -> Reg lro=2048 swapByteOffset=0 ti=256 vIdx=0 rIdx=0 oIdx=0 buffer=1 iui=0
_ds_load_u8 v71, v[vgprLocalReadAddrA] offset:2306 // L -> Reg lro=2048 swapByteOffset=0 ti=256 vIdx=0 rIdx=1 oIdx=0 buffer=1 iui=0
_ds_load_u8_d16_hi v72, v[vgprLocalReadAddrA] offset:2562 // L -> Reg lro=2048 swapByteOffset=0 ti=256 vIdx=0 rIdx=2 oIdx=0 buffer=1 iui=0
_ds_load_u8_d16_hi v73, v[vgprLocalReadAddrA] offset:2818 // L -> Reg lro=2048 swapByteOffset=0 ti=256 vIdx=0 rIdx=3 oIdx=0 buffer=1 iui=0
_ds_load_u8 v[vgprValuA_X1_I0+3], v[vgprLocalReadAddrA] offset:2051 // L -> Reg lro=2048 swapByteOffset=0 ti=256 vIdx=0 rIdx=0 oIdx=0 buffer=1 iui=0
_ds_load_u8 v74, v[vgprLocalReadAddrA] offset:2307 // L -> Reg lro=2048 swapByteOffset=0 ti=256 vIdx=0 rIdx=1 oIdx=0 buffer=1 iui=0
/* pack scheduling: packAIdx:12, packBIdx:3 */
_v_lshl_or_b32 v[vgprValuB_X0_I0+3], v62, 0x8, v[vgprValuB_X0_I0+3] // pack two int8 Vgpr to one half Vgpr
_v_lshl_or_b32 v63, v64, 0x8, v63                  // pack two int8 Vgpr to one half Vgpr
v_or_b32 v[vgprValuB_X0_I0+3], v[vgprValuB_X0_I0+3], v63 // pack two half Vgpr to one Vgpr
v_mfma_i32_32x32x8i8 a[48+0:63+0], v[vgprValuA_X0_I0+3+0+0], v[vgprValuB_X0_I0+0+0+0], a[48:63]
/*  mfmaIndex:4  */
_ds_load_u8_d16_hi v75, v[vgprLocalReadAddrA] offset:2563 // L -> Reg lro=2048 swapByteOffset=0 ti=256 vIdx=0 rIdx=2 oIdx=0 buffer=1 iui=0
_ds_load_u8_d16_hi v76, v[vgprLocalReadAddrA] offset:2819 // L -> Reg lro=2048 swapByteOffset=0 ti=256 vIdx=0 rIdx=3 oIdx=0 buffer=1 iui=0
_ds_load_u8 v[vgprValuB_X1_I0+1], v[vgprLocalReadAddrB] offset:2049 // L -> Reg lro=2048 swapByteOffset=0 ti=256 vIdx=0 rIdx=0 oIdx=0 buffer=1 iui=0
_ds_load_u8 v80, v[vgprLocalReadAddrB] offset:2305 // L -> Reg lro=2048 swapByteOffset=0 ti=256 vIdx=0 rIdx=1 oIdx=0 buffer=1 iui=0
_ds_load_u8_d16_hi v81, v[vgprLocalReadAddrB] offset:2561 // L -> Reg lro=2048 swapByteOffset=0 ti=256 vIdx=0 rIdx=2 oIdx=0 buffer=1 iui=0
_ds_load_u8_d16_hi v82, v[vgprLocalReadAddrB] offset:2817 // L -> Reg lro=2048 swapByteOffset=0 ti=256 vIdx=0 rIdx=3 oIdx=0 buffer=1 iui=0
v_mfma_i32_32x32x8i8 a[112+0:127+0], v[vgprValuA_X0_I0+3+0+0], v[vgprValuB_X0_I0+1+0+0], a[112:127]
/*  mfmaIndex:5  */
_ds_load_u8 v[vgprValuB_X1_I0+2], v[vgprLocalReadAddrB] offset:2050 // L -> Reg lro=2048 swapByteOffset=0 ti=256 vIdx=0 rIdx=0 oIdx=0 buffer=1 iui=0
_ds_load_u8 v83, v[vgprLocalReadAddrB] offset:2306 // L -> Reg lro=2048 swapByteOffset=0 ti=256 vIdx=0 rIdx=1 oIdx=0 buffer=1 iui=0
_ds_load_u8_d16_hi v84, v[vgprLocalReadAddrB] offset:2562 // L -> Reg lro=2048 swapByteOffset=0 ti=256 vIdx=0 rIdx=2 oIdx=0 buffer=1 iui=0
_ds_load_u8_d16_hi v85, v[vgprLocalReadAddrB] offset:2818 // L -> Reg lro=2048 swapByteOffset=0 ti=256 vIdx=0 rIdx=3 oIdx=0 buffer=1 iui=0
_ds_load_u8 v[vgprValuB_X1_I0+3], v[vgprLocalReadAddrB] offset:2051 // L -> Reg lro=2048 swapByteOffset=0 ti=256 vIdx=0 rIdx=0 oIdx=0 buffer=1 iui=0
_ds_load_u8 v86, v[vgprLocalReadAddrB] offset:2307 // L -> Reg lro=2048 swapByteOffset=0 ti=256 vIdx=0 rIdx=1 oIdx=0 buffer=1 iui=0
v_mfma_i32_32x32x8i8 a[96+0:111+0], v[vgprValuA_X0_I0+2+0+0], v[vgprValuB_X0_I0+1+0+0], a[96:111]
/*  mfmaIndex:6  */
_ds_load_u8_d16_hi v87, v[vgprLocalReadAddrB] offset:2563 // L -> Reg lro=2048 swapByteOffset=0 ti=256 vIdx=0 rIdx=2 oIdx=0 buffer=1 iui=0
_ds_load_u8_d16_hi v88, v[vgprLocalReadAddrB] offset:2819 // L -> Reg lro=2048 swapByteOffset=0 ti=256 vIdx=0 rIdx=3 oIdx=0 buffer=1 iui=0
/* localReadsVacancy: latencyLeft 9 */
v_mfma_i32_32x32x8i8 a[80+0:95+0], v[vgprValuA_X0_I0+1+0+0], v[vgprValuB_X0_I0+1+0+0], a[80:95]
/*  mfmaIndex:7  */
/* localReadsVacancy: latencyLeft 13 */
v_mfma_i32_32x32x8i8 a[64+0:79+0], v[vgprValuA_X0_I0+0+0+0], v[vgprValuB_X0_I0+1+0+0], a[64:79]
/*  mfmaIndex:8  */
	;; [unrolled: 3-line block ×9, first 2 shown]
/* localReadsVacancy: latencyLeft 13 */
v_mfma_i32_32x32x8i8 a[192+0:207+0], v[vgprValuA_X0_I0+0+0+0], v[vgprValuB_X0_I0+3+0+0], a[192:207]
/* numPrefetchIter=0 */
/* dataAtIterA=-1 numReadsIterA=1 skipReadsIterA=1 readsPerIterA=16 */
/* dataAtIterB=-1 numReadsIterB=1 skipReadsIterB=1 readsPerIterB=16 */


/* iter 1 (last unrolled loop) */

/*  grEndMfmaIndex:0, lwStartMfmaIndex:55, lwEndMfmaIndex:55  */
/*  numMfmaForLR:6, barrierMfmaIndex:57 */
/*  mfmaIndex:16  */
_ds_load_u8 v[vgprValuA_X0_I0+0], v[vgprLocalReadAddrA] offset:4096 // L -> Reg lro=4096 swapByteOffset=0 ti=256 vIdx=0 rIdx=0 oIdx=0 buffer=0 iui=0
_ds_load_u8 v41, v[vgprLocalReadAddrA] offset:4352 // L -> Reg lro=4096 swapByteOffset=0 ti=256 vIdx=0 rIdx=1 oIdx=0 buffer=0 iui=0
_ds_load_u8_d16_hi v42, v[vgprLocalReadAddrA] offset:4608 // L -> Reg lro=4096 swapByteOffset=0 ti=256 vIdx=0 rIdx=2 oIdx=0 buffer=0 iui=0
_ds_load_u8_d16_hi v43, v[vgprLocalReadAddrA] offset:4864 // L -> Reg lro=4096 swapByteOffset=0 ti=256 vIdx=0 rIdx=3 oIdx=0 buffer=0 iui=0
_ds_load_u8 v[vgprValuB_X0_I0+0], v[vgprLocalReadAddrB] offset:4096 // L -> Reg lro=4096 swapByteOffset=0 ti=256 vIdx=0 rIdx=0 oIdx=0 buffer=0 iui=0
_ds_load_u8 v53, v[vgprLocalReadAddrB] offset:4352 // L -> Reg lro=4096 swapByteOffset=0 ti=256 vIdx=0 rIdx=1 oIdx=0 buffer=0 iui=0
s_waitcnt lgkmcnt(6)                               // lgkmcnt=0 vmcnt=-1wait for prior local read local write old=0, new=6 newLW=0 newLR=6
/* pack scheduling: packAIdx:3, packBIdx:3 */
_v_lshl_or_b32 v[vgprValuA_X1_I0+0], v65, 0x8, v[vgprValuA_X1_I0+0] // pack two int8 Vgpr to one half Vgpr
_v_lshl_or_b32 v66, v67, 0x8, v66                  // pack two int8 Vgpr to one half Vgpr
v_or_b32 v[vgprValuA_X1_I0+0], v[vgprValuA_X1_I0+0], v66 // pack two half Vgpr to one Vgpr
_v_lshl_or_b32 v[vgprValuB_X1_I0+0], v77, 0x8, v[vgprValuB_X1_I0+0] // pack two int8 Vgpr to one half Vgpr
_v_lshl_or_b32 v78, v79, 0x8, v78                  // pack two int8 Vgpr to one half Vgpr
v_or_b32 v[vgprValuB_X1_I0+0], v[vgprValuB_X1_I0+0], v78 // pack two half Vgpr to one Vgpr
_v_lshl_or_b32 v[vgprValuA_X1_I0+1], v68, 0x8, v[vgprValuA_X1_I0+1] // pack two int8 Vgpr to one half Vgpr
_v_lshl_or_b32 v69, v70, 0x8, v69                  // pack two int8 Vgpr to one half Vgpr
v_or_b32 v[vgprValuA_X1_I0+1], v[vgprValuA_X1_I0+1], v69 // pack two half Vgpr to one Vgpr
v_mfma_i32_32x32x8i8 a[0+0:15+0], v[vgprValuA_X1_I0+0+0+0], v[vgprValuB_X1_I0+0+0+0], a[0:15]
/*  mfmaIndex:17  */
_ds_load_u8_d16_hi v54, v[vgprLocalReadAddrB] offset:4608 // L -> Reg lro=4096 swapByteOffset=0 ti=256 vIdx=0 rIdx=2 oIdx=0 buffer=0 iui=0
_ds_load_u8_d16_hi v55, v[vgprLocalReadAddrB] offset:4864 // L -> Reg lro=4096 swapByteOffset=0 ti=256 vIdx=0 rIdx=3 oIdx=0 buffer=0 iui=0
_ds_load_u8 v[vgprValuA_X0_I0+1], v[vgprLocalReadAddrA] offset:4097 // L -> Reg lro=4096 swapByteOffset=0 ti=256 vIdx=0 rIdx=0 oIdx=0 buffer=0 iui=0
_ds_load_u8 v44, v[vgprLocalReadAddrA] offset:4353 // L -> Reg lro=4096 swapByteOffset=0 ti=256 vIdx=0 rIdx=1 oIdx=0 buffer=0 iui=0
_ds_load_u8_d16_hi v45, v[vgprLocalReadAddrA] offset:4609 // L -> Reg lro=4096 swapByteOffset=0 ti=256 vIdx=0 rIdx=2 oIdx=0 buffer=0 iui=0
_ds_load_u8_d16_hi v46, v[vgprLocalReadAddrA] offset:4865 // L -> Reg lro=4096 swapByteOffset=0 ti=256 vIdx=0 rIdx=3 oIdx=0 buffer=0 iui=0
/* pack scheduling: packAIdx:6, packBIdx:3 */
_v_lshl_or_b32 v[vgprValuA_X1_I0+2], v71, 0x8, v[vgprValuA_X1_I0+2] // pack two int8 Vgpr to one half Vgpr
_v_lshl_or_b32 v72, v73, 0x8, v72                  // pack two int8 Vgpr to one half Vgpr
v_or_b32 v[vgprValuA_X1_I0+2], v[vgprValuA_X1_I0+2], v72 // pack two half Vgpr to one Vgpr
_v_lshl_or_b32 v[vgprValuA_X1_I0+3], v74, 0x8, v[vgprValuA_X1_I0+3] // pack two int8 Vgpr to one half Vgpr
_v_lshl_or_b32 v75, v76, 0x8, v75                  // pack two int8 Vgpr to one half Vgpr
v_or_b32 v[vgprValuA_X1_I0+3], v[vgprValuA_X1_I0+3], v75 // pack two half Vgpr to one Vgpr
v_mfma_i32_32x32x8i8 a[16+0:31+0], v[vgprValuA_X1_I0+1+0+0], v[vgprValuB_X1_I0+0+0+0], a[16:31]
/*  mfmaIndex:18  */
_ds_load_u8 v[vgprValuA_X0_I0+2], v[vgprLocalReadAddrA] offset:4098 // L -> Reg lro=4096 swapByteOffset=0 ti=256 vIdx=0 rIdx=0 oIdx=0 buffer=0 iui=0
_ds_load_u8 v47, v[vgprLocalReadAddrA] offset:4354 // L -> Reg lro=4096 swapByteOffset=0 ti=256 vIdx=0 rIdx=1 oIdx=0 buffer=0 iui=0
_ds_load_u8_d16_hi v48, v[vgprLocalReadAddrA] offset:4610 // L -> Reg lro=4096 swapByteOffset=0 ti=256 vIdx=0 rIdx=2 oIdx=0 buffer=0 iui=0
_ds_load_u8_d16_hi v49, v[vgprLocalReadAddrA] offset:4866 // L -> Reg lro=4096 swapByteOffset=0 ti=256 vIdx=0 rIdx=3 oIdx=0 buffer=0 iui=0
_ds_load_u8 v[vgprValuA_X0_I0+3], v[vgprLocalReadAddrA] offset:4099 // L -> Reg lro=4096 swapByteOffset=0 ti=256 vIdx=0 rIdx=0 oIdx=0 buffer=0 iui=0
_ds_load_u8 v50, v[vgprLocalReadAddrA] offset:4355 // L -> Reg lro=4096 swapByteOffset=0 ti=256 vIdx=0 rIdx=1 oIdx=0 buffer=0 iui=0
/* pack scheduling: packAIdx:9, packBIdx:3 */
_v_lshl_or_b32 v[vgprValuB_X1_I0+1], v80, 0x8, v[vgprValuB_X1_I0+1] // pack two int8 Vgpr to one half Vgpr
_v_lshl_or_b32 v81, v82, 0x8, v81                  // pack two int8 Vgpr to one half Vgpr
v_or_b32 v[vgprValuB_X1_I0+1], v[vgprValuB_X1_I0+1], v81 // pack two half Vgpr to one Vgpr
_v_lshl_or_b32 v[vgprValuB_X1_I0+2], v83, 0x8, v[vgprValuB_X1_I0+2] // pack two int8 Vgpr to one half Vgpr
_v_lshl_or_b32 v84, v85, 0x8, v84                  // pack two int8 Vgpr to one half Vgpr
v_or_b32 v[vgprValuB_X1_I0+2], v[vgprValuB_X1_I0+2], v84 // pack two half Vgpr to one Vgpr
v_mfma_i32_32x32x8i8 a[32+0:47+0], v[vgprValuA_X1_I0+2+0+0], v[vgprValuB_X1_I0+0+0+0], a[32:47]
/*  mfmaIndex:19  */
_ds_load_u8_d16_hi v51, v[vgprLocalReadAddrA] offset:4611 // L -> Reg lro=4096 swapByteOffset=0 ti=256 vIdx=0 rIdx=2 oIdx=0 buffer=0 iui=0
_ds_load_u8_d16_hi v52, v[vgprLocalReadAddrA] offset:4867 // L -> Reg lro=4096 swapByteOffset=0 ti=256 vIdx=0 rIdx=3 oIdx=0 buffer=0 iui=0
_ds_load_u8 v[vgprValuB_X0_I0+1], v[vgprLocalReadAddrB] offset:4097 // L -> Reg lro=4096 swapByteOffset=0 ti=256 vIdx=0 rIdx=0 oIdx=0 buffer=0 iui=0
_ds_load_u8 v56, v[vgprLocalReadAddrB] offset:4353 // L -> Reg lro=4096 swapByteOffset=0 ti=256 vIdx=0 rIdx=1 oIdx=0 buffer=0 iui=0
_ds_load_u8_d16_hi v57, v[vgprLocalReadAddrB] offset:4609 // L -> Reg lro=4096 swapByteOffset=0 ti=256 vIdx=0 rIdx=2 oIdx=0 buffer=0 iui=0
_ds_load_u8_d16_hi v58, v[vgprLocalReadAddrB] offset:4865 // L -> Reg lro=4096 swapByteOffset=0 ti=256 vIdx=0 rIdx=3 oIdx=0 buffer=0 iui=0
/* pack scheduling: packAIdx:12, packBIdx:3 */
_v_lshl_or_b32 v[vgprValuB_X1_I0+3], v86, 0x8, v[vgprValuB_X1_I0+3] // pack two int8 Vgpr to one half Vgpr
_v_lshl_or_b32 v87, v88, 0x8, v87                  // pack two int8 Vgpr to one half Vgpr
v_or_b32 v[vgprValuB_X1_I0+3], v[vgprValuB_X1_I0+3], v87 // pack two half Vgpr to one Vgpr
v_mfma_i32_32x32x8i8 a[48+0:63+0], v[vgprValuA_X1_I0+3+0+0], v[vgprValuB_X1_I0+0+0+0], a[48:63]
/*  mfmaIndex:20  */
_ds_load_u8 v[vgprValuB_X0_I0+2], v[vgprLocalReadAddrB] offset:4098 // L -> Reg lro=4096 swapByteOffset=0 ti=256 vIdx=0 rIdx=0 oIdx=0 buffer=0 iui=0
_ds_load_u8 v59, v[vgprLocalReadAddrB] offset:4354 // L -> Reg lro=4096 swapByteOffset=0 ti=256 vIdx=0 rIdx=1 oIdx=0 buffer=0 iui=0
_ds_load_u8_d16_hi v60, v[vgprLocalReadAddrB] offset:4610 // L -> Reg lro=4096 swapByteOffset=0 ti=256 vIdx=0 rIdx=2 oIdx=0 buffer=0 iui=0
_ds_load_u8_d16_hi v61, v[vgprLocalReadAddrB] offset:4866 // L -> Reg lro=4096 swapByteOffset=0 ti=256 vIdx=0 rIdx=3 oIdx=0 buffer=0 iui=0
_ds_load_u8 v[vgprValuB_X0_I0+3], v[vgprLocalReadAddrB] offset:4099 // L -> Reg lro=4096 swapByteOffset=0 ti=256 vIdx=0 rIdx=0 oIdx=0 buffer=0 iui=0
_ds_load_u8 v62, v[vgprLocalReadAddrB] offset:4355 // L -> Reg lro=4096 swapByteOffset=0 ti=256 vIdx=0 rIdx=1 oIdx=0 buffer=0 iui=0
v_mfma_i32_32x32x8i8 a[112+0:127+0], v[vgprValuA_X1_I0+3+0+0], v[vgprValuB_X1_I0+1+0+0], a[112:127]
/*  mfmaIndex:21  */
_ds_load_u8_d16_hi v63, v[vgprLocalReadAddrB] offset:4611 // L -> Reg lro=4096 swapByteOffset=0 ti=256 vIdx=0 rIdx=2 oIdx=0 buffer=0 iui=0
_ds_load_u8_d16_hi v64, v[vgprLocalReadAddrB] offset:4867 // L -> Reg lro=4096 swapByteOffset=0 ti=256 vIdx=0 rIdx=3 oIdx=0 buffer=0 iui=0
/* localReadsVacancy: latencyLeft 9 */
v_mfma_i32_32x32x8i8 a[96+0:111+0], v[vgprValuA_X1_I0+2+0+0], v[vgprValuB_X1_I0+1+0+0], a[96:111]
/*  mfmaIndex:22  */
/* localReadsVacancy: latencyLeft 13 */
v_mfma_i32_32x32x8i8 a[80+0:95+0], v[vgprValuA_X1_I0+1+0+0], v[vgprValuB_X1_I0+1+0+0], a[80:95]
/*  mfmaIndex:23  */
	;; [unrolled: 3-line block ×10, first 2 shown]
/* localReadsVacancy: latencyLeft 13 */
v_mfma_i32_32x32x8i8 a[192+0:207+0], v[vgprValuA_X1_I0+0+0+0], v[vgprValuB_X1_I0+3+0+0], a[192:207]
/* numPrefetchIter=0 */
/* dataAtIterA=0 numReadsIterA=2 skipReadsIterA=1 readsPerIterA=16 */
/* dataAtIterB=0 numReadsIterB=2 skipReadsIterB=1 readsPerIterB=16 */


/* iter 2 (last unrolled loop) */

/*  grEndMfmaIndex:0, lwStartMfmaIndex:55, lwEndMfmaIndex:55  */
/*  numMfmaForLR:6, barrierMfmaIndex:57 */
/*  mfmaIndex:32  */
_ds_load_u8 v[vgprValuA_X1_I0+0], v[vgprLocalReadAddrA] offset:6144 // L -> Reg lro=6144 swapByteOffset=0 ti=256 vIdx=0 rIdx=0 oIdx=0 buffer=1 iui=0
_ds_load_u8 v65, v[vgprLocalReadAddrA] offset:6400 // L -> Reg lro=6144 swapByteOffset=0 ti=256 vIdx=0 rIdx=1 oIdx=0 buffer=1 iui=0
_ds_load_u8_d16_hi v66, v[vgprLocalReadAddrA] offset:6656 // L -> Reg lro=6144 swapByteOffset=0 ti=256 vIdx=0 rIdx=2 oIdx=0 buffer=1 iui=0
_ds_load_u8_d16_hi v67, v[vgprLocalReadAddrA] offset:6912 // L -> Reg lro=6144 swapByteOffset=0 ti=256 vIdx=0 rIdx=3 oIdx=0 buffer=1 iui=0
_ds_load_u8 v[vgprValuB_X1_I0+0], v[vgprLocalReadAddrB] offset:6144 // L -> Reg lro=6144 swapByteOffset=0 ti=256 vIdx=0 rIdx=0 oIdx=0 buffer=1 iui=0
_ds_load_u8 v77, v[vgprLocalReadAddrB] offset:6400 // L -> Reg lro=6144 swapByteOffset=0 ti=256 vIdx=0 rIdx=1 oIdx=0 buffer=1 iui=0
s_waitcnt lgkmcnt(6)                               // lgkmcnt=0 vmcnt=-1wait for prior local read local write old=0, new=6 newLW=0 newLR=6
/* pack scheduling: packAIdx:3, packBIdx:3 */
_v_lshl_or_b32 v[vgprValuA_X0_I0+0], v41, 0x8, v[vgprValuA_X0_I0+0] // pack two int8 Vgpr to one half Vgpr
_v_lshl_or_b32 v42, v43, 0x8, v42                  // pack two int8 Vgpr to one half Vgpr
v_or_b32 v[vgprValuA_X0_I0+0], v[vgprValuA_X0_I0+0], v42 // pack two half Vgpr to one Vgpr
_v_lshl_or_b32 v[vgprValuB_X0_I0+0], v53, 0x8, v[vgprValuB_X0_I0+0] // pack two int8 Vgpr to one half Vgpr
_v_lshl_or_b32 v54, v55, 0x8, v54                  // pack two int8 Vgpr to one half Vgpr
v_or_b32 v[vgprValuB_X0_I0+0], v[vgprValuB_X0_I0+0], v54 // pack two half Vgpr to one Vgpr
_v_lshl_or_b32 v[vgprValuA_X0_I0+1], v44, 0x8, v[vgprValuA_X0_I0+1] // pack two int8 Vgpr to one half Vgpr
_v_lshl_or_b32 v45, v46, 0x8, v45                  // pack two int8 Vgpr to one half Vgpr
v_or_b32 v[vgprValuA_X0_I0+1], v[vgprValuA_X0_I0+1], v45 // pack two half Vgpr to one Vgpr
v_mfma_i32_32x32x8i8 a[0+0:15+0], v[vgprValuA_X0_I0+0+0+0], v[vgprValuB_X0_I0+0+0+0], a[0:15]
/*  mfmaIndex:33  */
_ds_load_u8_d16_hi v78, v[vgprLocalReadAddrB] offset:6656 // L -> Reg lro=6144 swapByteOffset=0 ti=256 vIdx=0 rIdx=2 oIdx=0 buffer=1 iui=0
_ds_load_u8_d16_hi v79, v[vgprLocalReadAddrB] offset:6912 // L -> Reg lro=6144 swapByteOffset=0 ti=256 vIdx=0 rIdx=3 oIdx=0 buffer=1 iui=0
_ds_load_u8 v[vgprValuA_X1_I0+1], v[vgprLocalReadAddrA] offset:6145 // L -> Reg lro=6144 swapByteOffset=0 ti=256 vIdx=0 rIdx=0 oIdx=0 buffer=1 iui=0
_ds_load_u8 v68, v[vgprLocalReadAddrA] offset:6401 // L -> Reg lro=6144 swapByteOffset=0 ti=256 vIdx=0 rIdx=1 oIdx=0 buffer=1 iui=0
_ds_load_u8_d16_hi v69, v[vgprLocalReadAddrA] offset:6657 // L -> Reg lro=6144 swapByteOffset=0 ti=256 vIdx=0 rIdx=2 oIdx=0 buffer=1 iui=0
_ds_load_u8_d16_hi v70, v[vgprLocalReadAddrA] offset:6913 // L -> Reg lro=6144 swapByteOffset=0 ti=256 vIdx=0 rIdx=3 oIdx=0 buffer=1 iui=0
/* pack scheduling: packAIdx:6, packBIdx:3 */
_v_lshl_or_b32 v[vgprValuA_X0_I0+2], v47, 0x8, v[vgprValuA_X0_I0+2] // pack two int8 Vgpr to one half Vgpr
_v_lshl_or_b32 v48, v49, 0x8, v48                  // pack two int8 Vgpr to one half Vgpr
v_or_b32 v[vgprValuA_X0_I0+2], v[vgprValuA_X0_I0+2], v48 // pack two half Vgpr to one Vgpr
_v_lshl_or_b32 v[vgprValuA_X0_I0+3], v50, 0x8, v[vgprValuA_X0_I0+3] // pack two int8 Vgpr to one half Vgpr
_v_lshl_or_b32 v51, v52, 0x8, v51                  // pack two int8 Vgpr to one half Vgpr
v_or_b32 v[vgprValuA_X0_I0+3], v[vgprValuA_X0_I0+3], v51 // pack two half Vgpr to one Vgpr
v_mfma_i32_32x32x8i8 a[16+0:31+0], v[vgprValuA_X0_I0+1+0+0], v[vgprValuB_X0_I0+0+0+0], a[16:31]
/*  mfmaIndex:34  */
_ds_load_u8 v[vgprValuA_X1_I0+2], v[vgprLocalReadAddrA] offset:6146 // L -> Reg lro=6144 swapByteOffset=0 ti=256 vIdx=0 rIdx=0 oIdx=0 buffer=1 iui=0
_ds_load_u8 v71, v[vgprLocalReadAddrA] offset:6402 // L -> Reg lro=6144 swapByteOffset=0 ti=256 vIdx=0 rIdx=1 oIdx=0 buffer=1 iui=0
_ds_load_u8_d16_hi v72, v[vgprLocalReadAddrA] offset:6658 // L -> Reg lro=6144 swapByteOffset=0 ti=256 vIdx=0 rIdx=2 oIdx=0 buffer=1 iui=0
_ds_load_u8_d16_hi v73, v[vgprLocalReadAddrA] offset:6914 // L -> Reg lro=6144 swapByteOffset=0 ti=256 vIdx=0 rIdx=3 oIdx=0 buffer=1 iui=0
_ds_load_u8 v[vgprValuA_X1_I0+3], v[vgprLocalReadAddrA] offset:6147 // L -> Reg lro=6144 swapByteOffset=0 ti=256 vIdx=0 rIdx=0 oIdx=0 buffer=1 iui=0
_ds_load_u8 v74, v[vgprLocalReadAddrA] offset:6403 // L -> Reg lro=6144 swapByteOffset=0 ti=256 vIdx=0 rIdx=1 oIdx=0 buffer=1 iui=0
/* pack scheduling: packAIdx:9, packBIdx:3 */
_v_lshl_or_b32 v[vgprValuB_X0_I0+1], v56, 0x8, v[vgprValuB_X0_I0+1] // pack two int8 Vgpr to one half Vgpr
_v_lshl_or_b32 v57, v58, 0x8, v57                  // pack two int8 Vgpr to one half Vgpr
v_or_b32 v[vgprValuB_X0_I0+1], v[vgprValuB_X0_I0+1], v57 // pack two half Vgpr to one Vgpr
_v_lshl_or_b32 v[vgprValuB_X0_I0+2], v59, 0x8, v[vgprValuB_X0_I0+2] // pack two int8 Vgpr to one half Vgpr
_v_lshl_or_b32 v60, v61, 0x8, v60                  // pack two int8 Vgpr to one half Vgpr
v_or_b32 v[vgprValuB_X0_I0+2], v[vgprValuB_X0_I0+2], v60 // pack two half Vgpr to one Vgpr
v_mfma_i32_32x32x8i8 a[32+0:47+0], v[vgprValuA_X0_I0+2+0+0], v[vgprValuB_X0_I0+0+0+0], a[32:47]
/*  mfmaIndex:35  */
_ds_load_u8_d16_hi v75, v[vgprLocalReadAddrA] offset:6659 // L -> Reg lro=6144 swapByteOffset=0 ti=256 vIdx=0 rIdx=2 oIdx=0 buffer=1 iui=0
_ds_load_u8_d16_hi v76, v[vgprLocalReadAddrA] offset:6915 // L -> Reg lro=6144 swapByteOffset=0 ti=256 vIdx=0 rIdx=3 oIdx=0 buffer=1 iui=0
_ds_load_u8 v[vgprValuB_X1_I0+1], v[vgprLocalReadAddrB] offset:6145 // L -> Reg lro=6144 swapByteOffset=0 ti=256 vIdx=0 rIdx=0 oIdx=0 buffer=1 iui=0
_ds_load_u8 v80, v[vgprLocalReadAddrB] offset:6401 // L -> Reg lro=6144 swapByteOffset=0 ti=256 vIdx=0 rIdx=1 oIdx=0 buffer=1 iui=0
_ds_load_u8_d16_hi v81, v[vgprLocalReadAddrB] offset:6657 // L -> Reg lro=6144 swapByteOffset=0 ti=256 vIdx=0 rIdx=2 oIdx=0 buffer=1 iui=0
_ds_load_u8_d16_hi v82, v[vgprLocalReadAddrB] offset:6913 // L -> Reg lro=6144 swapByteOffset=0 ti=256 vIdx=0 rIdx=3 oIdx=0 buffer=1 iui=0
/* pack scheduling: packAIdx:12, packBIdx:3 */
_v_lshl_or_b32 v[vgprValuB_X0_I0+3], v62, 0x8, v[vgprValuB_X0_I0+3] // pack two int8 Vgpr to one half Vgpr
_v_lshl_or_b32 v63, v64, 0x8, v63                  // pack two int8 Vgpr to one half Vgpr
v_or_b32 v[vgprValuB_X0_I0+3], v[vgprValuB_X0_I0+3], v63 // pack two half Vgpr to one Vgpr
v_mfma_i32_32x32x8i8 a[48+0:63+0], v[vgprValuA_X0_I0+3+0+0], v[vgprValuB_X0_I0+0+0+0], a[48:63]
/*  mfmaIndex:36  */
_ds_load_u8 v[vgprValuB_X1_I0+2], v[vgprLocalReadAddrB] offset:6146 // L -> Reg lro=6144 swapByteOffset=0 ti=256 vIdx=0 rIdx=0 oIdx=0 buffer=1 iui=0
_ds_load_u8 v83, v[vgprLocalReadAddrB] offset:6402 // L -> Reg lro=6144 swapByteOffset=0 ti=256 vIdx=0 rIdx=1 oIdx=0 buffer=1 iui=0
_ds_load_u8_d16_hi v84, v[vgprLocalReadAddrB] offset:6658 // L -> Reg lro=6144 swapByteOffset=0 ti=256 vIdx=0 rIdx=2 oIdx=0 buffer=1 iui=0
_ds_load_u8_d16_hi v85, v[vgprLocalReadAddrB] offset:6914 // L -> Reg lro=6144 swapByteOffset=0 ti=256 vIdx=0 rIdx=3 oIdx=0 buffer=1 iui=0
_ds_load_u8 v[vgprValuB_X1_I0+3], v[vgprLocalReadAddrB] offset:6147 // L -> Reg lro=6144 swapByteOffset=0 ti=256 vIdx=0 rIdx=0 oIdx=0 buffer=1 iui=0
_ds_load_u8 v86, v[vgprLocalReadAddrB] offset:6403 // L -> Reg lro=6144 swapByteOffset=0 ti=256 vIdx=0 rIdx=1 oIdx=0 buffer=1 iui=0
v_mfma_i32_32x32x8i8 a[112+0:127+0], v[vgprValuA_X0_I0+3+0+0], v[vgprValuB_X0_I0+1+0+0], a[112:127]
/*  mfmaIndex:37  */
_ds_load_u8_d16_hi v87, v[vgprLocalReadAddrB] offset:6659 // L -> Reg lro=6144 swapByteOffset=0 ti=256 vIdx=0 rIdx=2 oIdx=0 buffer=1 iui=0
_ds_load_u8_d16_hi v88, v[vgprLocalReadAddrB] offset:6915 // L -> Reg lro=6144 swapByteOffset=0 ti=256 vIdx=0 rIdx=3 oIdx=0 buffer=1 iui=0
/* localReadsVacancy: latencyLeft 9 */
v_mfma_i32_32x32x8i8 a[96+0:111+0], v[vgprValuA_X0_I0+2+0+0], v[vgprValuB_X0_I0+1+0+0], a[96:111]
/*  mfmaIndex:38  */
/* localReadsVacancy: latencyLeft 13 */
v_mfma_i32_32x32x8i8 a[80+0:95+0], v[vgprValuA_X0_I0+1+0+0], v[vgprValuB_X0_I0+1+0+0], a[80:95]
/*  mfmaIndex:39  */
	;; [unrolled: 3-line block ×10, first 2 shown]
/* localReadsVacancy: latencyLeft 13 */
v_mfma_i32_32x32x8i8 a[192+0:207+0], v[vgprValuA_X0_I0+0+0+0], v[vgprValuB_X0_I0+3+0+0], a[192:207]
/* numPrefetchIter=0 */
/* dataAtIterA=1 numReadsIterA=3 skipReadsIterA=1 readsPerIterA=16 */
/* dataAtIterB=1 numReadsIterB=3 skipReadsIterB=1 readsPerIterB=16 */


/* iter 3 (last unrolled loop) */

/*  grEndMfmaIndex:0, lwStartMfmaIndex:55, lwEndMfmaIndex:55  */
/*  numMfmaForLR:6, barrierMfmaIndex:57 */
/*  mfmaIndex:48  */
s_waitcnt lgkmcnt(0)                               // lgkmcnt=0 vmcnt=-1wait for prior local read local write old=0, new=0 newLW=0 newLR=0
/* pack scheduling: packAIdx:3, packBIdx:3 */
_v_lshl_or_b32 v[vgprValuA_X1_I0+0], v65, 0x8, v[vgprValuA_X1_I0+0] // pack two int8 Vgpr to one half Vgpr
_v_lshl_or_b32 v66, v67, 0x8, v66                  // pack two int8 Vgpr to one half Vgpr
v_or_b32 v[vgprValuA_X1_I0+0], v[vgprValuA_X1_I0+0], v66 // pack two half Vgpr to one Vgpr
_v_lshl_or_b32 v[vgprValuB_X1_I0+0], v77, 0x8, v[vgprValuB_X1_I0+0] // pack two int8 Vgpr to one half Vgpr
_v_lshl_or_b32 v78, v79, 0x8, v78                  // pack two int8 Vgpr to one half Vgpr
v_or_b32 v[vgprValuB_X1_I0+0], v[vgprValuB_X1_I0+0], v78 // pack two half Vgpr to one Vgpr
_v_lshl_or_b32 v[vgprValuA_X1_I0+1], v68, 0x8, v[vgprValuA_X1_I0+1] // pack two int8 Vgpr to one half Vgpr
_v_lshl_or_b32 v69, v70, 0x8, v69                  // pack two int8 Vgpr to one half Vgpr
v_or_b32 v[vgprValuA_X1_I0+1], v[vgprValuA_X1_I0+1], v69 // pack two half Vgpr to one Vgpr
v_mfma_i32_32x32x8i8 a[0+0:15+0], v[vgprValuA_X1_I0+0+0+0], v[vgprValuB_X1_I0+0+0+0], a[0:15]
/*  mfmaIndex:49  */
/* pack scheduling: packAIdx:6, packBIdx:3 */
_v_lshl_or_b32 v[vgprValuA_X1_I0+2], v71, 0x8, v[vgprValuA_X1_I0+2] // pack two int8 Vgpr to one half Vgpr
_v_lshl_or_b32 v72, v73, 0x8, v72                  // pack two int8 Vgpr to one half Vgpr
v_or_b32 v[vgprValuA_X1_I0+2], v[vgprValuA_X1_I0+2], v72 // pack two half Vgpr to one Vgpr
_v_lshl_or_b32 v[vgprValuA_X1_I0+3], v74, 0x8, v[vgprValuA_X1_I0+3] // pack two int8 Vgpr to one half Vgpr
_v_lshl_or_b32 v75, v76, 0x8, v75                  // pack two int8 Vgpr to one half Vgpr
v_or_b32 v[vgprValuA_X1_I0+3], v[vgprValuA_X1_I0+3], v75 // pack two half Vgpr to one Vgpr
v_mfma_i32_32x32x8i8 a[16+0:31+0], v[vgprValuA_X1_I0+1+0+0], v[vgprValuB_X1_I0+0+0+0], a[16:31]
/*  mfmaIndex:50  */
/* pack scheduling: packAIdx:9, packBIdx:3 */
_v_lshl_or_b32 v[vgprValuB_X1_I0+1], v80, 0x8, v[vgprValuB_X1_I0+1] // pack two int8 Vgpr to one half Vgpr
_v_lshl_or_b32 v81, v82, 0x8, v81                  // pack two int8 Vgpr to one half Vgpr
v_or_b32 v[vgprValuB_X1_I0+1], v[vgprValuB_X1_I0+1], v81 // pack two half Vgpr to one Vgpr
_v_lshl_or_b32 v[vgprValuB_X1_I0+2], v83, 0x8, v[vgprValuB_X1_I0+2] // pack two int8 Vgpr to one half Vgpr
_v_lshl_or_b32 v84, v85, 0x8, v84                  // pack two int8 Vgpr to one half Vgpr
v_or_b32 v[vgprValuB_X1_I0+2], v[vgprValuB_X1_I0+2], v84 // pack two half Vgpr to one Vgpr
v_mfma_i32_32x32x8i8 a[32+0:47+0], v[vgprValuA_X1_I0+2+0+0], v[vgprValuB_X1_I0+0+0+0], a[32:47]
/*  mfmaIndex:51  */
/* pack scheduling: packAIdx:12, packBIdx:3 */
_v_lshl_or_b32 v[vgprValuB_X1_I0+3], v86, 0x8, v[vgprValuB_X1_I0+3] // pack two int8 Vgpr to one half Vgpr
_v_lshl_or_b32 v87, v88, 0x8, v87                  // pack two int8 Vgpr to one half Vgpr
v_or_b32 v[vgprValuB_X1_I0+3], v[vgprValuB_X1_I0+3], v87 // pack two half Vgpr to one Vgpr
v_mfma_i32_32x32x8i8 a[48+0:63+0], v[vgprValuA_X1_I0+3+0+0], v[vgprValuB_X1_I0+0+0+0], a[48:63]
/*  mfmaIndex:52  */
v_mfma_i32_32x32x8i8 a[112+0:127+0], v[vgprValuA_X1_I0+3+0+0], v[vgprValuB_X1_I0+1+0+0], a[112:127]
/*  mfmaIndex:53  */
	;; [unrolled: 2-line block ×12, first 2 shown]
v_mfma_i32_32x32x8i8 a[192+0:207+0], v[vgprValuA_X1_I0+0+0+0], v[vgprValuB_X1_I0+3+0+0], a[192:207]
/* numPrefetchIter=0 */
/* dataAtIterA=2 numReadsIterA=3 skipReadsIterA=0 readsPerIterA=16 */
/* dataAtIterB=2 numReadsIterB=3 skipReadsIterB=0 readsPerIterB=16 */

/* Stores for OptNLL */
Summation_End_OptNLL_19:
/* endSummation: add vgpr [0...38) to pool */

/* Mapping of Acc register -> C Vgpr register */
/* computeStoreVgprs */
v_lshrrev_b32 v4, 6, v[vgprSerial]                 // v4 = v[vgprSerial] / 64
v_lshrrev_b32 v1, 1, v4                            // v1 = v4 / 2
v_mul_lo_u32 v1, 0x20, v1                          // wave coordination offset 1
v_and_b32 v5, 31, v[vgprSerial]                    // v5 = v[vgprSerial] % 32
_v_add_lshl_u32 v1, v5, v1, 2                      // coordination 1 = vwb *(wave_id1 + tid1)
v_mul_lo_u32 v2, v1, s[sgprStrideC1J]              //  offset 1
v_mul_lo_u32 v3, v1, s[sgprStrideD1J]              //  offset 1
v_and_b32 v0, 63, v[vgprSerial]                    // v0 = v[vgprSerial] % 64
v_lshrrev_b32 v0, 5, v0                            // v0 = v0 / 32
v_lshlrev_b32 v0, 0x2, v0                          // thread0 * continuous_output
v_and_b32 v5, 1, v4                                // v5 = v4 % 2
v_mul_lo_u32 v5, 0x20, v5                          // wave coordination offset 0
_v_add_lshl_u32 v0, v5, v0, 2                      // coordination 0 = vwa *(wave_id0 + tid0)
s_mul_i32 s42, 256, s[sgprWorkGroup0]              // wgp0 * MT0
_v_add_u32 v0, s42, v0                             // coord 0 = (tid0/MI_m)*4 + waveG0*MIB_m + MT0*SG0
s_mul_i32 s42, 256, s[sgprWorkGroup1]              // wgp1 * MT1
_v_add_u32 v1, s42, v1                             // coord 1 = (tid0%MI_m) + waveG1*MIB_n + MT1*SG1
GW_B0_E0_22:

/* edge=0, allocate 2 sgpr. perBatchTmpS=2 perBatchMaskS=0 perElementMaskS=0 elementsPerBatch=60 */
/* optSingleColVgpr=1 optSharedColVgpr=0 optSGPRUsage=BufferLoad_Mask optSrdIncForRow=1 */

/******************************************/
/* Global Write Batch #0 (d1,d0,vc1,vc0) = */
/*    (0,0,0,0:vw4); (0,0,0,4:vw4); (0,0,0,8:vw4); (0,0,0,12:vw4); (0,1,0,0:vw4); (0,1,0,4:vw4); (0,1,0,8:vw4); (0,1,0,12:vw4); (0,2,0,0:vw4); (0,2,0,4:vw4); (0,2,0,8:vw4); (0,2,0,12:vw4); (0,3,0,0:vw4); (0,3,0,4:vw4); (0,3,0,8:vw4); (0,3,0,12:vw4); (0,0,1,0:vw4); (0,0,1,4:vw4); (0,0,1,8:vw4); (0,0,1,12:vw4); (0,1,1,0:vw4); (0,1,1,4:vw4); (0,1,1,8:vw4); (0,1,1,12:vw4); (0,2,1,0:vw4); (0,2,1,4:vw4); (0,2,1,8:vw4); (0,2,1,12:vw4); (0,3,1,0:vw4); (0,3,1,4:vw4); (0,3,1,8:vw4); (0,3,1,12:vw4); (0,0,2,0:vw4); (0,0,2,4:vw4); (0,0,2,8:vw4); (0,0,2,12:vw4); (0,1,2,0:vw4); (0,1,2,4:vw4); (0,1,2,8:vw4); (0,1,2,12:vw4); (0,2,2,0:vw4); (0,2,2,4:vw4); (0,2,2,8:vw4); (0,2,2,12:vw4); (0,3,2,0:vw4); (0,3,2,4:vw4); (0,3,2,8:vw4); (0,3,2,12:vw4); (0,0,3,0:vw4); (0,0,3,4:vw4); (0,0,3,8:vw4); (0,0,3,12:vw4); (0,1,3,0:vw4); (0,1,3,4:vw4); (0,1,3,8:vw4); (0,1,3,12:vw4); (0,2,3,0:vw4); (0,2,3,4:vw4); (0,2,3,8:vw4); (0,2,3,12:vw4) */
/******************************************/

/* calc coords, apply mask, and issue loads (if necessary) */
/* (d1,vc1,d0,vc0)=(0,0,0,0) */
/* (d1,vc1,d0,vc0)=(0,0,0,4) */
/* (d1,vc1,d0,vc0)=(0,0,0,8) */
/* (d1,vc1,d0,vc0)=(0,0,0,12) */
/* (d1,vc1,d0,vc0)=(0,0,1,0) */
/* (d1,vc1,d0,vc0)=(0,0,1,4) */
/* (d1,vc1,d0,vc0)=(0,0,1,8) */
/* (d1,vc1,d0,vc0)=(0,0,1,12) */
/* (d1,vc1,d0,vc0)=(0,0,2,0) */
/* (d1,vc1,d0,vc0)=(0,0,2,4) */
/* (d1,vc1,d0,vc0)=(0,0,2,8) */
/* (d1,vc1,d0,vc0)=(0,0,2,12) */
/* (d1,vc1,d0,vc0)=(0,0,3,0) */
/* (d1,vc1,d0,vc0)=(0,0,3,4) */
/* (d1,vc1,d0,vc0)=(0,0,3,8) */
/* (d1,vc1,d0,vc0)=(0,0,3,12) */
/* (d1,vc1,d0,vc0)=(0,1,0,0) */
/* (d1,vc1,d0,vc0)=(0,1,0,4) */
/* (d1,vc1,d0,vc0)=(0,1,0,8) */
/* (d1,vc1,d0,vc0)=(0,1,0,12) */
/* (d1,vc1,d0,vc0)=(0,1,1,0) */
/* (d1,vc1,d0,vc0)=(0,1,1,4) */
/* (d1,vc1,d0,vc0)=(0,1,1,8) */
/* (d1,vc1,d0,vc0)=(0,1,1,12) */
/* (d1,vc1,d0,vc0)=(0,1,2,0) */
/* (d1,vc1,d0,vc0)=(0,1,2,4) */
/* (d1,vc1,d0,vc0)=(0,1,2,8) */
/* (d1,vc1,d0,vc0)=(0,1,2,12) */
/* (d1,vc1,d0,vc0)=(0,1,3,0) */
/* (d1,vc1,d0,vc0)=(0,1,3,4) */
/* (d1,vc1,d0,vc0)=(0,1,3,8) */
/* (d1,vc1,d0,vc0)=(0,1,3,12) */
/* (d1,vc1,d0,vc0)=(0,2,0,0) */
/* (d1,vc1,d0,vc0)=(0,2,0,4) */
/* (d1,vc1,d0,vc0)=(0,2,0,8) */
/* (d1,vc1,d0,vc0)=(0,2,0,12) */
/* (d1,vc1,d0,vc0)=(0,2,1,0) */
/* (d1,vc1,d0,vc0)=(0,2,1,4) */
/* (d1,vc1,d0,vc0)=(0,2,1,8) */
/* (d1,vc1,d0,vc0)=(0,2,1,12) */
/* (d1,vc1,d0,vc0)=(0,2,2,0) */
/* (d1,vc1,d0,vc0)=(0,2,2,4) */
/* (d1,vc1,d0,vc0)=(0,2,2,8) */
/* (d1,vc1,d0,vc0)=(0,2,2,12) */
/* (d1,vc1,d0,vc0)=(0,2,3,0) */
/* (d1,vc1,d0,vc0)=(0,2,3,4) */
/* (d1,vc1,d0,vc0)=(0,2,3,8) */
/* (d1,vc1,d0,vc0)=(0,2,3,12) */
/* (d1,vc1,d0,vc0)=(0,3,0,0) */
/* (d1,vc1,d0,vc0)=(0,3,0,4) */
/* (d1,vc1,d0,vc0)=(0,3,0,8) */
/* (d1,vc1,d0,vc0)=(0,3,0,12) */
/* (d1,vc1,d0,vc0)=(0,3,1,0) */
/* (d1,vc1,d0,vc0)=(0,3,1,4) */
/* (d1,vc1,d0,vc0)=(0,3,1,8) */
/* (d1,vc1,d0,vc0)=(0,3,1,12) */
/* (d1,vc1,d0,vc0)=(0,3,2,0) */
/* (d1,vc1,d0,vc0)=(0,3,2,4) */
/* (d1,vc1,d0,vc0)=(0,3,2,8) */
/* (d1,vc1,d0,vc0)=(0,3,2,12) */
_v_add_lshl_u32 v6, v3, v0, 0x2                    // optSingleColVgpr scaleToBpe: sharedAddrVgpr <- cinRowPtr + coord0, scaled by BPE. BSHERE:coord0=0, coord0Vgpr=0
v_accvgpr_read_b32 v[vgprValuC+8], acc0 // copy acc to vreg[0]
v_accvgpr_read_b32 v[vgprValuC+9], acc16 // copy acc to vreg[1]
v_accvgpr_read_b32 v[vgprValuC+10], acc32 // copy acc to vreg[2]
v_accvgpr_read_b32 v[vgprValuC+11], acc48 // copy acc to vreg[3]
v_accvgpr_read_b32 v[vgprValuC+12], acc1 // copy acc to vreg[4]
v_accvgpr_read_b32 v[vgprValuC+13], acc17 // copy acc to vreg[5]
v_accvgpr_read_b32 v[vgprValuC+14], acc33 // copy acc to vreg[6]
v_accvgpr_read_b32 v[vgprValuC+15], acc49 // copy acc to vreg[7]
v_accvgpr_read_b32 v[vgprValuC+16], acc2 // copy acc to vreg[8]
v_accvgpr_read_b32 v[vgprValuC+17], acc18 // copy acc to vreg[9]
v_accvgpr_read_b32 v[vgprValuC+18], acc34 // copy acc to vreg[10]
v_accvgpr_read_b32 v[vgprValuC+19], acc50 // copy acc to vreg[11]
v_accvgpr_read_b32 v[vgprValuC+20], acc3 // copy acc to vreg[12]
v_accvgpr_read_b32 v[vgprValuC+21], acc19 // copy acc to vreg[13]
v_accvgpr_read_b32 v[vgprValuC+22], acc35 // copy acc to vreg[14]
v_accvgpr_read_b32 v[vgprValuC+23], acc51 // copy acc to vreg[15]
v_accvgpr_read_b32 v[vgprValuC+24], acc4 // copy acc to vreg[16]
v_accvgpr_read_b32 v[vgprValuC+25], acc20 // copy acc to vreg[17]
v_accvgpr_read_b32 v[vgprValuC+26], acc36 // copy acc to vreg[18]
v_accvgpr_read_b32 v[vgprValuC+27], acc52 // copy acc to vreg[19]
v_accvgpr_read_b32 v[vgprValuC+28], acc5 // copy acc to vreg[20]
v_accvgpr_read_b32 v[vgprValuC+29], acc21 // copy acc to vreg[21]
v_accvgpr_read_b32 v[vgprValuC+30], acc37 // copy acc to vreg[22]
v_accvgpr_read_b32 v[vgprValuC+31], acc53 // copy acc to vreg[23]
v_accvgpr_read_b32 v[vgprValuC+32], acc6 // copy acc to vreg[24]
v_accvgpr_read_b32 v[vgprValuC+33], acc22 // copy acc to vreg[25]
v_accvgpr_read_b32 v[vgprValuC+34], acc38 // copy acc to vreg[26]
v_accvgpr_read_b32 v[vgprValuC+35], acc54 // copy acc to vreg[27]
v_accvgpr_read_b32 v[vgprValuC+44], acc7 // copy acc to vreg[28]
v_accvgpr_read_b32 v[vgprValuC+45], acc23 // copy acc to vreg[29]
v_accvgpr_read_b32 v[vgprValuC+46], acc39 // copy acc to vreg[30]
v_accvgpr_read_b32 v[vgprValuC+47], acc55 // copy acc to vreg[31]
v_accvgpr_read_b32 v[vgprValuC+48], acc8 // copy acc to vreg[32]
v_accvgpr_read_b32 v[vgprValuC+49], acc24 // copy acc to vreg[33]
v_accvgpr_read_b32 v[vgprValuC+50], acc40 // copy acc to vreg[34]
v_accvgpr_read_b32 v[vgprValuC+51], acc56 // copy acc to vreg[35]
v_accvgpr_read_b32 v[vgprValuC+52], acc9 // copy acc to vreg[36]
v_accvgpr_read_b32 v[vgprValuC+53], acc25 // copy acc to vreg[37]
v_accvgpr_read_b32 v[vgprValuC+54], acc41 // copy acc to vreg[38]
v_accvgpr_read_b32 v[vgprValuC+55], acc57 // copy acc to vreg[39]
v_accvgpr_read_b32 v[vgprValuC+56], acc10 // copy acc to vreg[40]
v_accvgpr_read_b32 v[vgprValuC+57], acc26 // copy acc to vreg[41]
v_accvgpr_read_b32 v[vgprValuC+58], acc42 // copy acc to vreg[42]
v_accvgpr_read_b32 v[vgprValuC+59], acc58 // copy acc to vreg[43]
v_accvgpr_read_b32 v[vgprValuC+60], acc11 // copy acc to vreg[44]
v_accvgpr_read_b32 v[vgprValuC+61], acc27 // copy acc to vreg[45]
v_accvgpr_read_b32 v[vgprValuC+62], acc43 // copy acc to vreg[46]
v_accvgpr_read_b32 v[vgprValuC+63], acc59 // copy acc to vreg[47]
v_accvgpr_read_b32 v[vgprValuC+64], acc12 // copy acc to vreg[48]
v_accvgpr_read_b32 v[vgprValuC+65], acc28 // copy acc to vreg[49]
v_accvgpr_read_b32 v[vgprValuC+66], acc44 // copy acc to vreg[50]
v_accvgpr_read_b32 v[vgprValuC+67], acc60 // copy acc to vreg[51]
v_accvgpr_read_b32 v[vgprValuC+68], acc13 // copy acc to vreg[52]
v_accvgpr_read_b32 v[vgprValuC+69], acc29 // copy acc to vreg[53]
v_accvgpr_read_b32 v[vgprValuC+70], acc45 // copy acc to vreg[54]
v_accvgpr_read_b32 v[vgprValuC+71], acc61 // copy acc to vreg[55]
v_accvgpr_read_b32 v[vgprValuC+72], acc14 // copy acc to vreg[56]
v_accvgpr_read_b32 v[vgprValuC+73], acc30 // copy acc to vreg[57]
v_accvgpr_read_b32 v[vgprValuC+74], acc46 // copy acc to vreg[58]
v_accvgpr_read_b32 v[vgprValuC+75], acc62 // copy acc to vreg[59]
v_accvgpr_read_b32 v[vgprValuC+76], acc15 // copy acc to vreg[60]
v_accvgpr_read_b32 v[vgprValuC+77], acc31 // copy acc to vreg[61]
v_accvgpr_read_b32 v[vgprValuC+78], acc47 // copy acc to vreg[62]
v_accvgpr_read_b32 v[vgprValuC+79], acc63 // copy acc to vreg[63]
v_accvgpr_read_b32 v[vgprValuC+80], acc64 // copy acc to vreg[64]
v_accvgpr_read_b32 v[vgprValuC+81], acc80 // copy acc to vreg[65]
v_accvgpr_read_b32 v[vgprValuC+82], acc96 // copy acc to vreg[66]
v_accvgpr_read_b32 v[vgprValuC+83], acc112 // copy acc to vreg[67]
v_accvgpr_read_b32 v[vgprValuC+84], acc65 // copy acc to vreg[68]
v_accvgpr_read_b32 v[vgprValuC+85], acc81 // copy acc to vreg[69]
v_accvgpr_read_b32 v[vgprValuC+86], acc97 // copy acc to vreg[70]
v_accvgpr_read_b32 v[vgprValuC+87], acc113 // copy acc to vreg[71]
v_accvgpr_read_b32 v[vgprValuC+88], acc66 // copy acc to vreg[72]
v_accvgpr_read_b32 v[vgprValuC+89], acc82 // copy acc to vreg[73]
v_accvgpr_read_b32 v[vgprValuC+90], acc98 // copy acc to vreg[74]
v_accvgpr_read_b32 v[vgprValuC+91], acc114 // copy acc to vreg[75]
v_accvgpr_read_b32 v[vgprValuC+92], acc67 // copy acc to vreg[76]
v_accvgpr_read_b32 v[vgprValuC+93], acc83 // copy acc to vreg[77]
v_accvgpr_read_b32 v[vgprValuC+94], acc99 // copy acc to vreg[78]
v_accvgpr_read_b32 v[vgprValuC+95], acc115 // copy acc to vreg[79]
v_accvgpr_read_b32 v[vgprValuC+96], acc68 // copy acc to vreg[80]
v_accvgpr_read_b32 v[vgprValuC+97], acc84 // copy acc to vreg[81]
v_accvgpr_read_b32 v[vgprValuC+98], acc100 // copy acc to vreg[82]
v_accvgpr_read_b32 v[vgprValuC+99], acc116 // copy acc to vreg[83]
v_accvgpr_read_b32 v[vgprValuC+100], acc69 // copy acc to vreg[84]
v_accvgpr_read_b32 v[vgprValuC+101], acc85 // copy acc to vreg[85]
v_accvgpr_read_b32 v[vgprValuC+102], acc101 // copy acc to vreg[86]
v_accvgpr_read_b32 v[vgprValuC+103], acc117 // copy acc to vreg[87]
v_accvgpr_read_b32 v[vgprValuC+104], acc70 // copy acc to vreg[88]
v_accvgpr_read_b32 v[vgprValuC+105], acc86 // copy acc to vreg[89]
v_accvgpr_read_b32 v[vgprValuC+106], acc102 // copy acc to vreg[90]
v_accvgpr_read_b32 v[vgprValuC+107], acc118 // copy acc to vreg[91]
v_accvgpr_read_b32 v[vgprValuC+108], acc71 // copy acc to vreg[92]
v_accvgpr_read_b32 v[vgprValuC+109], acc87 // copy acc to vreg[93]
v_accvgpr_read_b32 v[vgprValuC+110], acc103 // copy acc to vreg[94]
v_accvgpr_read_b32 v[vgprValuC+111], acc119 // copy acc to vreg[95]
v_accvgpr_read_b32 v[vgprValuC+112], acc72 // copy acc to vreg[96]
v_accvgpr_read_b32 v[vgprValuC+113], acc88 // copy acc to vreg[97]
v_accvgpr_read_b32 v[vgprValuC+114], acc104 // copy acc to vreg[98]
v_accvgpr_read_b32 v[vgprValuC+115], acc120 // copy acc to vreg[99]
v_accvgpr_read_b32 v[vgprValuC+116], acc73 // copy acc to vreg[100]
v_accvgpr_read_b32 v[vgprValuC+117], acc89 // copy acc to vreg[101]
v_accvgpr_read_b32 v[vgprValuC+118], acc105 // copy acc to vreg[102]
v_accvgpr_read_b32 v[vgprValuC+119], acc121 // copy acc to vreg[103]
v_accvgpr_read_b32 v[vgprValuC+120], acc74 // copy acc to vreg[104]
v_accvgpr_read_b32 v[vgprValuC+121], acc90 // copy acc to vreg[105]
v_accvgpr_read_b32 v[vgprValuC+122], acc106 // copy acc to vreg[106]
v_accvgpr_read_b32 v[vgprValuC+123], acc122 // copy acc to vreg[107]
v_accvgpr_read_b32 v[vgprValuC+124], acc75 // copy acc to vreg[108]
v_accvgpr_read_b32 v[vgprValuC+125], acc91 // copy acc to vreg[109]
v_accvgpr_read_b32 v[vgprValuC+126], acc107 // copy acc to vreg[110]
v_accvgpr_read_b32 v[vgprValuC+127], acc123 // copy acc to vreg[111]
v_accvgpr_read_b32 v[vgprValuC+128], acc76 // copy acc to vreg[112]
v_accvgpr_read_b32 v[vgprValuC+129], acc92 // copy acc to vreg[113]
v_accvgpr_read_b32 v[vgprValuC+130], acc108 // copy acc to vreg[114]
v_accvgpr_read_b32 v[vgprValuC+131], acc124 // copy acc to vreg[115]
v_accvgpr_read_b32 v[vgprValuC+132], acc77 // copy acc to vreg[116]
v_accvgpr_read_b32 v[vgprValuC+133], acc93 // copy acc to vreg[117]
v_accvgpr_read_b32 v[vgprValuC+134], acc109 // copy acc to vreg[118]
v_accvgpr_read_b32 v[vgprValuC+135], acc125 // copy acc to vreg[119]
v_accvgpr_read_b32 v[vgprValuC+136], acc78 // copy acc to vreg[120]
v_accvgpr_read_b32 v[vgprValuC+137], acc94 // copy acc to vreg[121]
v_accvgpr_read_b32 v[vgprValuC+138], acc110 // copy acc to vreg[122]
v_accvgpr_read_b32 v[vgprValuC+139], acc126 // copy acc to vreg[123]
v_accvgpr_read_b32 v[vgprValuC+140], acc79 // copy acc to vreg[124]
v_accvgpr_read_b32 v[vgprValuC+141], acc95 // copy acc to vreg[125]
v_accvgpr_read_b32 v[vgprValuC+142], acc111 // copy acc to vreg[126]
v_accvgpr_read_b32 v[vgprValuC+143], acc127 // copy acc to vreg[127]
v_accvgpr_read_b32 v[vgprValuC+144], acc128 // copy acc to vreg[128]
v_accvgpr_read_b32 v[vgprValuC+145], acc144 // copy acc to vreg[129]
v_accvgpr_read_b32 v[vgprValuC+146], acc160 // copy acc to vreg[130]
v_accvgpr_read_b32 v[vgprValuC+147], acc176 // copy acc to vreg[131]
v_accvgpr_read_b32 v[vgprValuC+148], acc129 // copy acc to vreg[132]
v_accvgpr_read_b32 v[vgprValuC+149], acc145 // copy acc to vreg[133]
v_accvgpr_read_b32 v[vgprValuC+150], acc161 // copy acc to vreg[134]
v_accvgpr_read_b32 v[vgprValuC+151], acc177 // copy acc to vreg[135]
v_accvgpr_read_b32 v[vgprValuC+152], acc130 // copy acc to vreg[136]
v_accvgpr_read_b32 v[vgprValuC+153], acc146 // copy acc to vreg[137]
v_accvgpr_read_b32 v[vgprValuC+154], acc162 // copy acc to vreg[138]
v_accvgpr_read_b32 v[vgprValuC+155], acc178 // copy acc to vreg[139]
v_accvgpr_read_b32 v[vgprValuC+156], acc131 // copy acc to vreg[140]
v_accvgpr_read_b32 v[vgprValuC+157], acc147 // copy acc to vreg[141]
v_accvgpr_read_b32 v[vgprValuC+158], acc163 // copy acc to vreg[142]
v_accvgpr_read_b32 v[vgprValuC+159], acc179 // copy acc to vreg[143]
v_accvgpr_read_b32 v[vgprValuC+160], acc132 // copy acc to vreg[144]
v_accvgpr_read_b32 v[vgprValuC+161], acc148 // copy acc to vreg[145]
v_accvgpr_read_b32 v[vgprValuC+162], acc164 // copy acc to vreg[146]
v_accvgpr_read_b32 v[vgprValuC+163], acc180 // copy acc to vreg[147]
v_accvgpr_read_b32 v[vgprValuC+164], acc133 // copy acc to vreg[148]
v_accvgpr_read_b32 v[vgprValuC+165], acc149 // copy acc to vreg[149]
v_accvgpr_read_b32 v[vgprValuC+166], acc165 // copy acc to vreg[150]
v_accvgpr_read_b32 v[vgprValuC+167], acc181 // copy acc to vreg[151]
v_accvgpr_read_b32 v[vgprValuC+168], acc134 // copy acc to vreg[152]
v_accvgpr_read_b32 v[vgprValuC+169], acc150 // copy acc to vreg[153]
v_accvgpr_read_b32 v[vgprValuC+170], acc166 // copy acc to vreg[154]
v_accvgpr_read_b32 v[vgprValuC+171], acc182 // copy acc to vreg[155]
v_accvgpr_read_b32 v[vgprValuC+172], acc135 // copy acc to vreg[156]
v_accvgpr_read_b32 v[vgprValuC+173], acc151 // copy acc to vreg[157]
v_accvgpr_read_b32 v[vgprValuC+174], acc167 // copy acc to vreg[158]
v_accvgpr_read_b32 v[vgprValuC+175], acc183 // copy acc to vreg[159]
v_accvgpr_read_b32 v[vgprValuC+176], acc136 // copy acc to vreg[160]
v_accvgpr_read_b32 v[vgprValuC+177], acc152 // copy acc to vreg[161]
v_accvgpr_read_b32 v[vgprValuC+178], acc168 // copy acc to vreg[162]
v_accvgpr_read_b32 v[vgprValuC+179], acc184 // copy acc to vreg[163]
v_accvgpr_read_b32 v[vgprValuC+180], acc137 // copy acc to vreg[164]
v_accvgpr_read_b32 v[vgprValuC+181], acc153 // copy acc to vreg[165]
v_accvgpr_read_b32 v[vgprValuC+182], acc169 // copy acc to vreg[166]
v_accvgpr_read_b32 v[vgprValuC+183], acc185 // copy acc to vreg[167]
v_accvgpr_read_b32 v[vgprValuC+184], acc138 // copy acc to vreg[168]
v_accvgpr_read_b32 v[vgprValuC+185], acc154 // copy acc to vreg[169]
v_accvgpr_read_b32 v[vgprValuC+186], acc170 // copy acc to vreg[170]
v_accvgpr_read_b32 v[vgprValuC+187], acc186 // copy acc to vreg[171]
v_accvgpr_read_b32 v[vgprValuC+188], acc139 // copy acc to vreg[172]
v_accvgpr_read_b32 v[vgprValuC+189], acc155 // copy acc to vreg[173]
v_accvgpr_read_b32 v[vgprValuC+190], acc171 // copy acc to vreg[174]
v_accvgpr_read_b32 v[vgprValuC+191], acc187 // copy acc to vreg[175]
v_accvgpr_read_b32 v[vgprValuC+192], acc140 // copy acc to vreg[176]
v_accvgpr_read_b32 v[vgprValuC+193], acc156 // copy acc to vreg[177]
v_accvgpr_read_b32 v[vgprValuC+194], acc172 // copy acc to vreg[178]
v_accvgpr_read_b32 v[vgprValuC+195], acc188 // copy acc to vreg[179]
v_accvgpr_read_b32 v[vgprValuC+196], acc141 // copy acc to vreg[180]
v_accvgpr_read_b32 v[vgprValuC+197], acc157 // copy acc to vreg[181]
v_accvgpr_read_b32 v[vgprValuC+198], acc173 // copy acc to vreg[182]
v_accvgpr_read_b32 v[vgprValuC+199], acc189 // copy acc to vreg[183]
v_accvgpr_read_b32 v[vgprValuC+200], acc142 // copy acc to vreg[184]
v_accvgpr_read_b32 v[vgprValuC+201], acc158 // copy acc to vreg[185]
v_accvgpr_read_b32 v[vgprValuC+202], acc174 // copy acc to vreg[186]
v_accvgpr_read_b32 v[vgprValuC+203], acc190 // copy acc to vreg[187]
v_accvgpr_read_b32 v[vgprValuC+204], acc143 // copy acc to vreg[188]
v_accvgpr_read_b32 v[vgprValuC+205], acc159 // copy acc to vreg[189]
v_accvgpr_read_b32 v[vgprValuC+206], acc175 // copy acc to vreg[190]
v_accvgpr_read_b32 v[vgprValuC+207], acc191 // copy acc to vreg[191]
v_accvgpr_read_b32 v[vgprValuC+208], acc192 // copy acc to vreg[192]
v_accvgpr_read_b32 v[vgprValuC+209], acc208 // copy acc to vreg[193]
v_accvgpr_read_b32 v[vgprValuC+210], acc224 // copy acc to vreg[194]
v_accvgpr_read_b32 v[vgprValuC+211], acc240 // copy acc to vreg[195]
v_accvgpr_read_b32 v[vgprValuC+212], acc193 // copy acc to vreg[196]
v_accvgpr_read_b32 v[vgprValuC+213], acc209 // copy acc to vreg[197]
v_accvgpr_read_b32 v[vgprValuC+214], acc225 // copy acc to vreg[198]
v_accvgpr_read_b32 v[vgprValuC+215], acc241 // copy acc to vreg[199]
v_accvgpr_read_b32 v[vgprValuC+216], acc194 // copy acc to vreg[200]
v_accvgpr_read_b32 v[vgprValuC+217], acc210 // copy acc to vreg[201]
v_accvgpr_read_b32 v[vgprValuC+218], acc226 // copy acc to vreg[202]
v_accvgpr_read_b32 v[vgprValuC+219], acc242 // copy acc to vreg[203]
v_accvgpr_read_b32 v[vgprValuC+220], acc195 // copy acc to vreg[204]
v_accvgpr_read_b32 v[vgprValuC+221], acc211 // copy acc to vreg[205]
v_accvgpr_read_b32 v[vgprValuC+222], acc227 // copy acc to vreg[206]
v_accvgpr_read_b32 v[vgprValuC+223], acc243 // copy acc to vreg[207]
v_accvgpr_read_b32 v[vgprValuC+224], acc196 // copy acc to vreg[208]
v_accvgpr_read_b32 v[vgprValuC+225], acc212 // copy acc to vreg[209]
v_accvgpr_read_b32 v[vgprValuC+226], acc228 // copy acc to vreg[210]
v_accvgpr_read_b32 v[vgprValuC+227], acc244 // copy acc to vreg[211]
v_accvgpr_read_b32 v[vgprValuC+228], acc197 // copy acc to vreg[212]
v_accvgpr_read_b32 v[vgprValuC+229], acc213 // copy acc to vreg[213]
v_accvgpr_read_b32 v[vgprValuC+230], acc229 // copy acc to vreg[214]
v_accvgpr_read_b32 v[vgprValuC+231], acc245 // copy acc to vreg[215]
v_accvgpr_read_b32 v[vgprValuC+232], acc198 // copy acc to vreg[216]
v_accvgpr_read_b32 v[vgprValuC+233], acc214 // copy acc to vreg[217]
v_accvgpr_read_b32 v[vgprValuC+234], acc230 // copy acc to vreg[218]
v_accvgpr_read_b32 v[vgprValuC+235], acc246 // copy acc to vreg[219]
v_accvgpr_read_b32 v[vgprValuC+236], acc199 // copy acc to vreg[220]
v_accvgpr_read_b32 v[vgprValuC+237], acc215 // copy acc to vreg[221]
v_accvgpr_read_b32 v[vgprValuC+238], acc231 // copy acc to vreg[222]
v_accvgpr_read_b32 v[vgprValuC+239], acc247 // copy acc to vreg[223]
v_accvgpr_read_b32 v[vgprValuC+240], acc200 // copy acc to vreg[224]
v_accvgpr_read_b32 v[vgprValuC+241], acc216 // copy acc to vreg[225]
v_accvgpr_read_b32 v[vgprValuC+242], acc232 // copy acc to vreg[226]
v_accvgpr_read_b32 v[vgprValuC+243], acc248 // copy acc to vreg[227]
v_accvgpr_read_b32 v[vgprValuC+244], acc201 // copy acc to vreg[228]
v_accvgpr_read_b32 v[vgprValuC+245], acc217 // copy acc to vreg[229]
v_accvgpr_read_b32 v[vgprValuC+246], acc233 // copy acc to vreg[230]
v_accvgpr_read_b32 v[vgprValuC+247], acc249 // copy acc to vreg[231]
v_accvgpr_read_b32 v[vgprValuC+248], acc202 // copy acc to vreg[232]
v_accvgpr_read_b32 v[vgprValuC+249], acc218 // copy acc to vreg[233]
v_accvgpr_read_b32 v[vgprValuC+250], acc234 // copy acc to vreg[234]
v_accvgpr_read_b32 v[vgprValuC+251], acc250 // copy acc to vreg[235]
v_accvgpr_read_b32 v[vgprValuC+252], acc203 // copy acc to vreg[236]
v_accvgpr_read_b32 v[vgprValuC+253], acc219 // copy acc to vreg[237]
v_accvgpr_read_b32 v[vgprValuC+254], acc235 // copy acc to vreg[238]
v_accvgpr_read_b32 v[vgprValuC+255], acc251 // copy acc to vreg[239]
s_nop 1                                            // 2 wait states required before reading vgpr

/* apply mask, calc new C and issue writes */
_buffer_store_b128 v[8:11], v6, s[sgprSrdD:sgprSrdD+3], 0, offen, offset:0 // store D
_buffer_store_b128 v[12:15], v6, s[sgprSrdD:sgprSrdD+3], 0, offen, offset:16 // store D
_buffer_store_b128 v[16:19], v6, s[sgprSrdD:sgprSrdD+3], 0, offen, offset:32 // store D
_buffer_store_b128 v[20:23], v6, s[sgprSrdD:sgprSrdD+3], 0, offen, offset:48 // store D
_buffer_store_b128 v[24:27], v6, s[sgprSrdD:sgprSrdD+3], 0, offen, offset:128 // store D
_buffer_store_b128 v[28:31], v6, s[sgprSrdD:sgprSrdD+3], 0, offen, offset:144 // store D
_buffer_store_b128 v[32:35], v6, s[sgprSrdD:sgprSrdD+3], 0, offen, offset:160 // store D
_buffer_store_b128 v[44:47], v6, s[sgprSrdD:sgprSrdD+3], 0, offen, offset:176 // store D
_buffer_store_b128 v[48:51], v6, s[sgprSrdD:sgprSrdD+3], 0, offen, offset:256 // store D
_buffer_store_b128 v[52:55], v6, s[sgprSrdD:sgprSrdD+3], 0, offen, offset:272 // store D
_buffer_store_b128 v[56:59], v6, s[sgprSrdD:sgprSrdD+3], 0, offen, offset:288 // store D
_buffer_store_b128 v[60:63], v6, s[sgprSrdD:sgprSrdD+3], 0, offen, offset:304 // store D
_buffer_store_b128 v[64:67], v6, s[sgprSrdD:sgprSrdD+3], 0, offen, offset:384 // store D
_buffer_store_b128 v[68:71], v6, s[sgprSrdD:sgprSrdD+3], 0, offen, offset:400 // store D
_buffer_store_b128 v[72:75], v6, s[sgprSrdD:sgprSrdD+3], 0, offen, offset:416 // store D
_buffer_store_b128 v[76:79], v6, s[sgprSrdD:sgprSrdD+3], 0, offen, offset:432 // store D
s_lshl_b32  s42, s[sgprStrideD1J], 2               // incToNextRow: Scale by BPE
s_add_u32  s[sgprSrdD+0], s[sgprSrdD+0], s42       // incToNextRow: gra SRD += inc(lower)
s_addc_u32  s[sgprSrdD+1], s[sgprSrdD+1], 0        // incToNextRow: gra SRD += inc(upper)
_buffer_store_b128 v[80:83], v6, s[sgprSrdD:sgprSrdD+3], 0, offen, offset:0 // store D
_buffer_store_b128 v[84:87], v6, s[sgprSrdD:sgprSrdD+3], 0, offen, offset:16 // store D
_buffer_store_b128 v[88:91], v6, s[sgprSrdD:sgprSrdD+3], 0, offen, offset:32 // store D
_buffer_store_b128 v[92:95], v6, s[sgprSrdD:sgprSrdD+3], 0, offen, offset:48 // store D
_buffer_store_b128 v[96:99], v6, s[sgprSrdD:sgprSrdD+3], 0, offen, offset:128 // store D
_buffer_store_b128 v[100:103], v6, s[sgprSrdD:sgprSrdD+3], 0, offen, offset:144 // store D
_buffer_store_b128 v[104:107], v6, s[sgprSrdD:sgprSrdD+3], 0, offen, offset:160 // store D
_buffer_store_b128 v[108:111], v6, s[sgprSrdD:sgprSrdD+3], 0, offen, offset:176 // store D
_buffer_store_b128 v[112:115], v6, s[sgprSrdD:sgprSrdD+3], 0, offen, offset:256 // store D
_buffer_store_b128 v[116:119], v6, s[sgprSrdD:sgprSrdD+3], 0, offen, offset:272 // store D
_buffer_store_b128 v[120:123], v6, s[sgprSrdD:sgprSrdD+3], 0, offen, offset:288 // store D
_buffer_store_b128 v[124:127], v6, s[sgprSrdD:sgprSrdD+3], 0, offen, offset:304 // store D
_buffer_store_b128 v[128:131], v6, s[sgprSrdD:sgprSrdD+3], 0, offen, offset:384 // store D
_buffer_store_b128 v[132:135], v6, s[sgprSrdD:sgprSrdD+3], 0, offen, offset:400 // store D
_buffer_store_b128 v[136:139], v6, s[sgprSrdD:sgprSrdD+3], 0, offen, offset:416 // store D
_buffer_store_b128 v[140:143], v6, s[sgprSrdD:sgprSrdD+3], 0, offen, offset:432 // store D
s_lshl_b32  s42, s[sgprStrideD1J], 2               // incToNextRow: Scale by BPE
s_add_u32  s[sgprSrdD+0], s[sgprSrdD+0], s42       // incToNextRow: gra SRD += inc(lower)
s_addc_u32  s[sgprSrdD+1], s[sgprSrdD+1], 0        // incToNextRow: gra SRD += inc(upper)
	;; [unrolled: 19-line block ×3, first 2 shown]
_buffer_store_b128 v[208:211], v6, s[sgprSrdD:sgprSrdD+3], 0, offen, offset:0 // store D
_buffer_store_b128 v[212:215], v6, s[sgprSrdD:sgprSrdD+3], 0, offen, offset:16 // store D
_buffer_store_b128 v[216:219], v6, s[sgprSrdD:sgprSrdD+3], 0, offen, offset:32 // store D
_buffer_store_b128 v[220:223], v6, s[sgprSrdD:sgprSrdD+3], 0, offen, offset:48 // store D
_buffer_store_b128 v[224:227], v6, s[sgprSrdD:sgprSrdD+3], 0, offen, offset:128 // store D
_buffer_store_b128 v[228:231], v6, s[sgprSrdD:sgprSrdD+3], 0, offen, offset:144 // store D
_buffer_store_b128 v[232:235], v6, s[sgprSrdD:sgprSrdD+3], 0, offen, offset:160 // store D
_buffer_store_b128 v[236:239], v6, s[sgprSrdD:sgprSrdD+3], 0, offen, offset:176 // store D
_buffer_store_b128 v[240:243], v6, s[sgprSrdD:sgprSrdD+3], 0, offen, offset:256 // store D
_buffer_store_b128 v[244:247], v6, s[sgprSrdD:sgprSrdD+3], 0, offen, offset:272 // store D
_buffer_store_b128 v[248:251], v6, s[sgprSrdD:sgprSrdD+3], 0, offen, offset:288 // store D
_buffer_store_b128 v[252:255], v6, s[sgprSrdD:sgprSrdD+3], 0, offen, offset:304 // store D
s_nop 0                                            // 1 wait state required when next inst writes vgprs held by previous dwordx4 store inst
/* optSingleColVgpr=1 optSharedColVgpr=0 optSGPRUsage=BufferLoad_Mask optSrdIncForRow=1 */

/******************************************/
/* Global Write Batch #1 (d1,d0,vc1,vc0) = */
/*    (0,3,3,0:vw4); (0,3,3,4:vw4); (0,3,3,8:vw4); (0,3,3,12:vw4) */
/******************************************/

/* calc coords, apply mask, and issue loads (if necessary) */
/* (d1,vc1,d0,vc0)=(0,3,3,0) */
/* (d1,vc1,d0,vc0)=(0,3,3,4) */
	;; [unrolled: 1-line block ×4, first 2 shown]
v_accvgpr_read_b32 v[vgprValuC+8], acc204 // copy acc to vreg[240]
v_accvgpr_read_b32 v[vgprValuC+9], acc220 // copy acc to vreg[241]
v_accvgpr_read_b32 v[vgprValuC+10], acc236 // copy acc to vreg[242]
v_accvgpr_read_b32 v[vgprValuC+11], acc252 // copy acc to vreg[243]
v_accvgpr_read_b32 v[vgprValuC+12], acc205 // copy acc to vreg[244]
v_accvgpr_read_b32 v[vgprValuC+13], acc221 // copy acc to vreg[245]
v_accvgpr_read_b32 v[vgprValuC+14], acc237 // copy acc to vreg[246]
v_accvgpr_read_b32 v[vgprValuC+15], acc253 // copy acc to vreg[247]
v_accvgpr_read_b32 v[vgprValuC+16], acc206 // copy acc to vreg[248]
v_accvgpr_read_b32 v[vgprValuC+17], acc222 // copy acc to vreg[249]
v_accvgpr_read_b32 v[vgprValuC+18], acc238 // copy acc to vreg[250]
v_accvgpr_read_b32 v[vgprValuC+19], acc254 // copy acc to vreg[251]
v_accvgpr_read_b32 v[vgprValuC+20], acc207 // copy acc to vreg[252]
v_accvgpr_read_b32 v[vgprValuC+21], acc223 // copy acc to vreg[253]
v_accvgpr_read_b32 v[vgprValuC+22], acc239 // copy acc to vreg[254]
v_accvgpr_read_b32 v[vgprValuC+23], acc255 // copy acc to vreg[255]
s_nop 1                                            // 2 wait states required before reading vgpr

/* apply mask, calc new C and issue writes */
_buffer_store_b128 v[8:11], v6, s[sgprSrdD:sgprSrdD+3], 0, offen, offset:384 // store D
_buffer_store_b128 v[12:15], v6, s[sgprSrdD:sgprSrdD+3], 0, offen, offset:400 // store D
	;; [unrolled: 1-line block ×4, first 2 shown]
s_nop 0                                            // 1 wait state required when next inst writes vgprs held by previous dwordx4 store inst
s_branch label_GW_End_24                           // jump to end
label_GW_End_24:

s_mul_i32 s42, s[sgprNumWorkGroups0], s[sgprNumWorkGroups1] // Total WG-0x1
s_cmp_ge_u32 s[sgprSerialWorkGroupIter], s42       // outside legal WG?
s_cbranch_scc1 label_NoBranch_29                   // Only branch on scc0
s_getpc_B64 s[64:65]                               // addr of next instr
s_add_i32 s66, label_0012, 0x4                     // target branch offset
s_abs_i32 s66, s66                                 // abs offset
s_sub_u32 s64, s64, s66                            // sub target branch offset
s_subb_u32 s65, s65, 0                             // sub high and carry
s_setpc_b64 s[64:65]                               // branch to label_0012
label_NoBranch_29:
s_endpgm                                           // Kernel End
OptNLL_End_18:


/******************************************/
/* Ord. NoLoadLoop - Begin                                      */
/******************************************/


	;; [unrolled: 1-line block ×4, first 2 shown]
/* iter 0 (last unrolled loop) */

/*  grEndMfmaIndex:0, lwStartMfmaIndex:55, lwEndMfmaIndex:55  */
/*  numMfmaForLR:6, barrierMfmaIndex:57 */
/*  mfmaIndex:0  */
s_waitcnt lgkmcnt(0)                               // lgkmcnt=0 vmcnt=-1wait for prior local read local write old=0, new=0 newLW=0 newLR=0
/* pack scheduling: packAIdx:3, packBIdx:3 */
_v_lshl_or_b32 v[vgprValuA_X0_I0+0], v41, 0x8, v[vgprValuA_X0_I0+0] // pack two int8 Vgpr to one half Vgpr
_v_lshl_or_b32 v42, v43, 0x8, v42                  // pack two int8 Vgpr to one half Vgpr
v_or_b32 v[vgprValuA_X0_I0+0], v[vgprValuA_X0_I0+0], v42 // pack two half Vgpr to one Vgpr
_v_lshl_or_b32 v[vgprValuB_X0_I0+0], v53, 0x8, v[vgprValuB_X0_I0+0] // pack two int8 Vgpr to one half Vgpr
_v_lshl_or_b32 v54, v55, 0x8, v54                  // pack two int8 Vgpr to one half Vgpr
v_or_b32 v[vgprValuB_X0_I0+0], v[vgprValuB_X0_I0+0], v54 // pack two half Vgpr to one Vgpr
_v_lshl_or_b32 v[vgprValuA_X0_I0+1], v44, 0x8, v[vgprValuA_X0_I0+1] // pack two int8 Vgpr to one half Vgpr
_v_lshl_or_b32 v45, v46, 0x8, v45                  // pack two int8 Vgpr to one half Vgpr
v_or_b32 v[vgprValuA_X0_I0+1], v[vgprValuA_X0_I0+1], v45 // pack two half Vgpr to one Vgpr
v_mfma_i32_32x32x8i8 a[0+0:15+0], v[vgprValuA_X0_I0+0+0+0], v[vgprValuB_X0_I0+0+0+0], a[0:15]
/*  mfmaIndex:1  */
_ds_load_u8 v[vgprValuA_X1_I0+0], v[vgprLocalReadAddrA] offset:2048 // L -> Reg lro=2048 swapByteOffset=0 ti=256 vIdx=0 rIdx=0 oIdx=0 buffer=1 iui=0
_ds_load_u8 v65, v[vgprLocalReadAddrA] offset:2304 // L -> Reg lro=2048 swapByteOffset=0 ti=256 vIdx=0 rIdx=1 oIdx=0 buffer=1 iui=0
_ds_load_u8_d16_hi v66, v[vgprLocalReadAddrA] offset:2560 // L -> Reg lro=2048 swapByteOffset=0 ti=256 vIdx=0 rIdx=2 oIdx=0 buffer=1 iui=0
_ds_load_u8_d16_hi v67, v[vgprLocalReadAddrA] offset:2816 // L -> Reg lro=2048 swapByteOffset=0 ti=256 vIdx=0 rIdx=3 oIdx=0 buffer=1 iui=0
_ds_load_u8 v[vgprValuB_X1_I0+0], v[vgprLocalReadAddrB] offset:2048 // L -> Reg lro=2048 swapByteOffset=0 ti=256 vIdx=0 rIdx=0 oIdx=0 buffer=1 iui=0
_ds_load_u8 v77, v[vgprLocalReadAddrB] offset:2304 // L -> Reg lro=2048 swapByteOffset=0 ti=256 vIdx=0 rIdx=1 oIdx=0 buffer=1 iui=0
/* pack scheduling: packAIdx:6, packBIdx:3 */
_v_lshl_or_b32 v[vgprValuA_X0_I0+2], v47, 0x8, v[vgprValuA_X0_I0+2] // pack two int8 Vgpr to one half Vgpr
_v_lshl_or_b32 v48, v49, 0x8, v48                  // pack two int8 Vgpr to one half Vgpr
v_or_b32 v[vgprValuA_X0_I0+2], v[vgprValuA_X0_I0+2], v48 // pack two half Vgpr to one Vgpr
_v_lshl_or_b32 v[vgprValuA_X0_I0+3], v50, 0x8, v[vgprValuA_X0_I0+3] // pack two int8 Vgpr to one half Vgpr
_v_lshl_or_b32 v51, v52, 0x8, v51                  // pack two int8 Vgpr to one half Vgpr
v_or_b32 v[vgprValuA_X0_I0+3], v[vgprValuA_X0_I0+3], v51 // pack two half Vgpr to one Vgpr
v_mfma_i32_32x32x8i8 a[16+0:31+0], v[vgprValuA_X0_I0+1+0+0], v[vgprValuB_X0_I0+0+0+0], a[16:31]
/*  mfmaIndex:2  */
_ds_load_u8_d16_hi v78, v[vgprLocalReadAddrB] offset:2560 // L -> Reg lro=2048 swapByteOffset=0 ti=256 vIdx=0 rIdx=2 oIdx=0 buffer=1 iui=0
_ds_load_u8_d16_hi v79, v[vgprLocalReadAddrB] offset:2816 // L -> Reg lro=2048 swapByteOffset=0 ti=256 vIdx=0 rIdx=3 oIdx=0 buffer=1 iui=0
_ds_load_u8 v[vgprValuA_X1_I0+1], v[vgprLocalReadAddrA] offset:2049 // L -> Reg lro=2048 swapByteOffset=0 ti=256 vIdx=0 rIdx=0 oIdx=0 buffer=1 iui=0
_ds_load_u8 v68, v[vgprLocalReadAddrA] offset:2305 // L -> Reg lro=2048 swapByteOffset=0 ti=256 vIdx=0 rIdx=1 oIdx=0 buffer=1 iui=0
_ds_load_u8_d16_hi v69, v[vgprLocalReadAddrA] offset:2561 // L -> Reg lro=2048 swapByteOffset=0 ti=256 vIdx=0 rIdx=2 oIdx=0 buffer=1 iui=0
_ds_load_u8_d16_hi v70, v[vgprLocalReadAddrA] offset:2817 // L -> Reg lro=2048 swapByteOffset=0 ti=256 vIdx=0 rIdx=3 oIdx=0 buffer=1 iui=0
/* pack scheduling: packAIdx:9, packBIdx:3 */
_v_lshl_or_b32 v[vgprValuB_X0_I0+1], v56, 0x8, v[vgprValuB_X0_I0+1] // pack two int8 Vgpr to one half Vgpr
_v_lshl_or_b32 v57, v58, 0x8, v57                  // pack two int8 Vgpr to one half Vgpr
v_or_b32 v[vgprValuB_X0_I0+1], v[vgprValuB_X0_I0+1], v57 // pack two half Vgpr to one Vgpr
_v_lshl_or_b32 v[vgprValuB_X0_I0+2], v59, 0x8, v[vgprValuB_X0_I0+2] // pack two int8 Vgpr to one half Vgpr
_v_lshl_or_b32 v60, v61, 0x8, v60                  // pack two int8 Vgpr to one half Vgpr
v_or_b32 v[vgprValuB_X0_I0+2], v[vgprValuB_X0_I0+2], v60 // pack two half Vgpr to one Vgpr
v_mfma_i32_32x32x8i8 a[32+0:47+0], v[vgprValuA_X0_I0+2+0+0], v[vgprValuB_X0_I0+0+0+0], a[32:47]
/*  mfmaIndex:3  */
_ds_load_u8 v[vgprValuA_X1_I0+2], v[vgprLocalReadAddrA] offset:2050 // L -> Reg lro=2048 swapByteOffset=0 ti=256 vIdx=0 rIdx=0 oIdx=0 buffer=1 iui=0
_ds_load_u8 v71, v[vgprLocalReadAddrA] offset:2306 // L -> Reg lro=2048 swapByteOffset=0 ti=256 vIdx=0 rIdx=1 oIdx=0 buffer=1 iui=0
_ds_load_u8_d16_hi v72, v[vgprLocalReadAddrA] offset:2562 // L -> Reg lro=2048 swapByteOffset=0 ti=256 vIdx=0 rIdx=2 oIdx=0 buffer=1 iui=0
_ds_load_u8_d16_hi v73, v[vgprLocalReadAddrA] offset:2818 // L -> Reg lro=2048 swapByteOffset=0 ti=256 vIdx=0 rIdx=3 oIdx=0 buffer=1 iui=0
_ds_load_u8 v[vgprValuA_X1_I0+3], v[vgprLocalReadAddrA] offset:2051 // L -> Reg lro=2048 swapByteOffset=0 ti=256 vIdx=0 rIdx=0 oIdx=0 buffer=1 iui=0
_ds_load_u8 v74, v[vgprLocalReadAddrA] offset:2307 // L -> Reg lro=2048 swapByteOffset=0 ti=256 vIdx=0 rIdx=1 oIdx=0 buffer=1 iui=0
/* pack scheduling: packAIdx:12, packBIdx:3 */
_v_lshl_or_b32 v[vgprValuB_X0_I0+3], v62, 0x8, v[vgprValuB_X0_I0+3] // pack two int8 Vgpr to one half Vgpr
_v_lshl_or_b32 v63, v64, 0x8, v63                  // pack two int8 Vgpr to one half Vgpr
v_or_b32 v[vgprValuB_X0_I0+3], v[vgprValuB_X0_I0+3], v63 // pack two half Vgpr to one Vgpr
v_mfma_i32_32x32x8i8 a[48+0:63+0], v[vgprValuA_X0_I0+3+0+0], v[vgprValuB_X0_I0+0+0+0], a[48:63]
/*  mfmaIndex:4  */
_ds_load_u8_d16_hi v75, v[vgprLocalReadAddrA] offset:2563 // L -> Reg lro=2048 swapByteOffset=0 ti=256 vIdx=0 rIdx=2 oIdx=0 buffer=1 iui=0
_ds_load_u8_d16_hi v76, v[vgprLocalReadAddrA] offset:2819 // L -> Reg lro=2048 swapByteOffset=0 ti=256 vIdx=0 rIdx=3 oIdx=0 buffer=1 iui=0
_ds_load_u8 v[vgprValuB_X1_I0+1], v[vgprLocalReadAddrB] offset:2049 // L -> Reg lro=2048 swapByteOffset=0 ti=256 vIdx=0 rIdx=0 oIdx=0 buffer=1 iui=0
_ds_load_u8 v80, v[vgprLocalReadAddrB] offset:2305 // L -> Reg lro=2048 swapByteOffset=0 ti=256 vIdx=0 rIdx=1 oIdx=0 buffer=1 iui=0
_ds_load_u8_d16_hi v81, v[vgprLocalReadAddrB] offset:2561 // L -> Reg lro=2048 swapByteOffset=0 ti=256 vIdx=0 rIdx=2 oIdx=0 buffer=1 iui=0
_ds_load_u8_d16_hi v82, v[vgprLocalReadAddrB] offset:2817 // L -> Reg lro=2048 swapByteOffset=0 ti=256 vIdx=0 rIdx=3 oIdx=0 buffer=1 iui=0
v_mfma_i32_32x32x8i8 a[112+0:127+0], v[vgprValuA_X0_I0+3+0+0], v[vgprValuB_X0_I0+1+0+0], a[112:127]
/*  mfmaIndex:5  */
_ds_load_u8 v[vgprValuB_X1_I0+2], v[vgprLocalReadAddrB] offset:2050 // L -> Reg lro=2048 swapByteOffset=0 ti=256 vIdx=0 rIdx=0 oIdx=0 buffer=1 iui=0
_ds_load_u8 v83, v[vgprLocalReadAddrB] offset:2306 // L -> Reg lro=2048 swapByteOffset=0 ti=256 vIdx=0 rIdx=1 oIdx=0 buffer=1 iui=0
_ds_load_u8_d16_hi v84, v[vgprLocalReadAddrB] offset:2562 // L -> Reg lro=2048 swapByteOffset=0 ti=256 vIdx=0 rIdx=2 oIdx=0 buffer=1 iui=0
_ds_load_u8_d16_hi v85, v[vgprLocalReadAddrB] offset:2818 // L -> Reg lro=2048 swapByteOffset=0 ti=256 vIdx=0 rIdx=3 oIdx=0 buffer=1 iui=0
_ds_load_u8 v[vgprValuB_X1_I0+3], v[vgprLocalReadAddrB] offset:2051 // L -> Reg lro=2048 swapByteOffset=0 ti=256 vIdx=0 rIdx=0 oIdx=0 buffer=1 iui=0
_ds_load_u8 v86, v[vgprLocalReadAddrB] offset:2307 // L -> Reg lro=2048 swapByteOffset=0 ti=256 vIdx=0 rIdx=1 oIdx=0 buffer=1 iui=0
v_mfma_i32_32x32x8i8 a[96+0:111+0], v[vgprValuA_X0_I0+2+0+0], v[vgprValuB_X0_I0+1+0+0], a[96:111]
/*  mfmaIndex:6  */
_ds_load_u8_d16_hi v87, v[vgprLocalReadAddrB] offset:2563 // L -> Reg lro=2048 swapByteOffset=0 ti=256 vIdx=0 rIdx=2 oIdx=0 buffer=1 iui=0
_ds_load_u8_d16_hi v88, v[vgprLocalReadAddrB] offset:2819 // L -> Reg lro=2048 swapByteOffset=0 ti=256 vIdx=0 rIdx=3 oIdx=0 buffer=1 iui=0
/* localReadsVacancy: latencyLeft 9 */
v_mfma_i32_32x32x8i8 a[80+0:95+0], v[vgprValuA_X0_I0+1+0+0], v[vgprValuB_X0_I0+1+0+0], a[80:95]
/*  mfmaIndex:7  */
/* localReadsVacancy: latencyLeft 13 */
v_mfma_i32_32x32x8i8 a[64+0:79+0], v[vgprValuA_X0_I0+0+0+0], v[vgprValuB_X0_I0+1+0+0], a[64:79]
/*  mfmaIndex:8  */
	;; [unrolled: 3-line block ×9, first 2 shown]
/* localReadsVacancy: latencyLeft 13 */
v_mfma_i32_32x32x8i8 a[192+0:207+0], v[vgprValuA_X0_I0+0+0+0], v[vgprValuB_X0_I0+3+0+0], a[192:207]
/* numPrefetchIter=0 */
/* dataAtIterA=-1 numReadsIterA=1 skipReadsIterA=1 readsPerIterA=16 */
/* dataAtIterB=-1 numReadsIterB=1 skipReadsIterB=1 readsPerIterB=16 */


/* iter 1 (last unrolled loop) */

/*  grEndMfmaIndex:0, lwStartMfmaIndex:55, lwEndMfmaIndex:55  */
/*  numMfmaForLR:6, barrierMfmaIndex:57 */
/*  mfmaIndex:16  */
_ds_load_u8 v[vgprValuA_X0_I0+0], v[vgprLocalReadAddrA] offset:4096 // L -> Reg lro=4096 swapByteOffset=0 ti=256 vIdx=0 rIdx=0 oIdx=0 buffer=0 iui=0
_ds_load_u8 v41, v[vgprLocalReadAddrA] offset:4352 // L -> Reg lro=4096 swapByteOffset=0 ti=256 vIdx=0 rIdx=1 oIdx=0 buffer=0 iui=0
_ds_load_u8_d16_hi v42, v[vgprLocalReadAddrA] offset:4608 // L -> Reg lro=4096 swapByteOffset=0 ti=256 vIdx=0 rIdx=2 oIdx=0 buffer=0 iui=0
_ds_load_u8_d16_hi v43, v[vgprLocalReadAddrA] offset:4864 // L -> Reg lro=4096 swapByteOffset=0 ti=256 vIdx=0 rIdx=3 oIdx=0 buffer=0 iui=0
_ds_load_u8 v[vgprValuB_X0_I0+0], v[vgprLocalReadAddrB] offset:4096 // L -> Reg lro=4096 swapByteOffset=0 ti=256 vIdx=0 rIdx=0 oIdx=0 buffer=0 iui=0
_ds_load_u8 v53, v[vgprLocalReadAddrB] offset:4352 // L -> Reg lro=4096 swapByteOffset=0 ti=256 vIdx=0 rIdx=1 oIdx=0 buffer=0 iui=0
s_waitcnt lgkmcnt(6)                               // lgkmcnt=0 vmcnt=-1wait for prior local read local write old=0, new=6 newLW=0 newLR=6
/* pack scheduling: packAIdx:3, packBIdx:3 */
_v_lshl_or_b32 v[vgprValuA_X1_I0+0], v65, 0x8, v[vgprValuA_X1_I0+0] // pack two int8 Vgpr to one half Vgpr
_v_lshl_or_b32 v66, v67, 0x8, v66                  // pack two int8 Vgpr to one half Vgpr
v_or_b32 v[vgprValuA_X1_I0+0], v[vgprValuA_X1_I0+0], v66 // pack two half Vgpr to one Vgpr
_v_lshl_or_b32 v[vgprValuB_X1_I0+0], v77, 0x8, v[vgprValuB_X1_I0+0] // pack two int8 Vgpr to one half Vgpr
_v_lshl_or_b32 v78, v79, 0x8, v78                  // pack two int8 Vgpr to one half Vgpr
v_or_b32 v[vgprValuB_X1_I0+0], v[vgprValuB_X1_I0+0], v78 // pack two half Vgpr to one Vgpr
_v_lshl_or_b32 v[vgprValuA_X1_I0+1], v68, 0x8, v[vgprValuA_X1_I0+1] // pack two int8 Vgpr to one half Vgpr
_v_lshl_or_b32 v69, v70, 0x8, v69                  // pack two int8 Vgpr to one half Vgpr
v_or_b32 v[vgprValuA_X1_I0+1], v[vgprValuA_X1_I0+1], v69 // pack two half Vgpr to one Vgpr
v_mfma_i32_32x32x8i8 a[0+0:15+0], v[vgprValuA_X1_I0+0+0+0], v[vgprValuB_X1_I0+0+0+0], a[0:15]
/*  mfmaIndex:17  */
_ds_load_u8_d16_hi v54, v[vgprLocalReadAddrB] offset:4608 // L -> Reg lro=4096 swapByteOffset=0 ti=256 vIdx=0 rIdx=2 oIdx=0 buffer=0 iui=0
_ds_load_u8_d16_hi v55, v[vgprLocalReadAddrB] offset:4864 // L -> Reg lro=4096 swapByteOffset=0 ti=256 vIdx=0 rIdx=3 oIdx=0 buffer=0 iui=0
_ds_load_u8 v[vgprValuA_X0_I0+1], v[vgprLocalReadAddrA] offset:4097 // L -> Reg lro=4096 swapByteOffset=0 ti=256 vIdx=0 rIdx=0 oIdx=0 buffer=0 iui=0
_ds_load_u8 v44, v[vgprLocalReadAddrA] offset:4353 // L -> Reg lro=4096 swapByteOffset=0 ti=256 vIdx=0 rIdx=1 oIdx=0 buffer=0 iui=0
_ds_load_u8_d16_hi v45, v[vgprLocalReadAddrA] offset:4609 // L -> Reg lro=4096 swapByteOffset=0 ti=256 vIdx=0 rIdx=2 oIdx=0 buffer=0 iui=0
_ds_load_u8_d16_hi v46, v[vgprLocalReadAddrA] offset:4865 // L -> Reg lro=4096 swapByteOffset=0 ti=256 vIdx=0 rIdx=3 oIdx=0 buffer=0 iui=0
/* pack scheduling: packAIdx:6, packBIdx:3 */
_v_lshl_or_b32 v[vgprValuA_X1_I0+2], v71, 0x8, v[vgprValuA_X1_I0+2] // pack two int8 Vgpr to one half Vgpr
_v_lshl_or_b32 v72, v73, 0x8, v72                  // pack two int8 Vgpr to one half Vgpr
v_or_b32 v[vgprValuA_X1_I0+2], v[vgprValuA_X1_I0+2], v72 // pack two half Vgpr to one Vgpr
_v_lshl_or_b32 v[vgprValuA_X1_I0+3], v74, 0x8, v[vgprValuA_X1_I0+3] // pack two int8 Vgpr to one half Vgpr
_v_lshl_or_b32 v75, v76, 0x8, v75                  // pack two int8 Vgpr to one half Vgpr
v_or_b32 v[vgprValuA_X1_I0+3], v[vgprValuA_X1_I0+3], v75 // pack two half Vgpr to one Vgpr
v_mfma_i32_32x32x8i8 a[16+0:31+0], v[vgprValuA_X1_I0+1+0+0], v[vgprValuB_X1_I0+0+0+0], a[16:31]
/*  mfmaIndex:18  */
_ds_load_u8 v[vgprValuA_X0_I0+2], v[vgprLocalReadAddrA] offset:4098 // L -> Reg lro=4096 swapByteOffset=0 ti=256 vIdx=0 rIdx=0 oIdx=0 buffer=0 iui=0
_ds_load_u8 v47, v[vgprLocalReadAddrA] offset:4354 // L -> Reg lro=4096 swapByteOffset=0 ti=256 vIdx=0 rIdx=1 oIdx=0 buffer=0 iui=0
_ds_load_u8_d16_hi v48, v[vgprLocalReadAddrA] offset:4610 // L -> Reg lro=4096 swapByteOffset=0 ti=256 vIdx=0 rIdx=2 oIdx=0 buffer=0 iui=0
_ds_load_u8_d16_hi v49, v[vgprLocalReadAddrA] offset:4866 // L -> Reg lro=4096 swapByteOffset=0 ti=256 vIdx=0 rIdx=3 oIdx=0 buffer=0 iui=0
_ds_load_u8 v[vgprValuA_X0_I0+3], v[vgprLocalReadAddrA] offset:4099 // L -> Reg lro=4096 swapByteOffset=0 ti=256 vIdx=0 rIdx=0 oIdx=0 buffer=0 iui=0
_ds_load_u8 v50, v[vgprLocalReadAddrA] offset:4355 // L -> Reg lro=4096 swapByteOffset=0 ti=256 vIdx=0 rIdx=1 oIdx=0 buffer=0 iui=0
/* pack scheduling: packAIdx:9, packBIdx:3 */
_v_lshl_or_b32 v[vgprValuB_X1_I0+1], v80, 0x8, v[vgprValuB_X1_I0+1] // pack two int8 Vgpr to one half Vgpr
_v_lshl_or_b32 v81, v82, 0x8, v81                  // pack two int8 Vgpr to one half Vgpr
v_or_b32 v[vgprValuB_X1_I0+1], v[vgprValuB_X1_I0+1], v81 // pack two half Vgpr to one Vgpr
_v_lshl_or_b32 v[vgprValuB_X1_I0+2], v83, 0x8, v[vgprValuB_X1_I0+2] // pack two int8 Vgpr to one half Vgpr
_v_lshl_or_b32 v84, v85, 0x8, v84                  // pack two int8 Vgpr to one half Vgpr
v_or_b32 v[vgprValuB_X1_I0+2], v[vgprValuB_X1_I0+2], v84 // pack two half Vgpr to one Vgpr
v_mfma_i32_32x32x8i8 a[32+0:47+0], v[vgprValuA_X1_I0+2+0+0], v[vgprValuB_X1_I0+0+0+0], a[32:47]
/*  mfmaIndex:19  */
_ds_load_u8_d16_hi v51, v[vgprLocalReadAddrA] offset:4611 // L -> Reg lro=4096 swapByteOffset=0 ti=256 vIdx=0 rIdx=2 oIdx=0 buffer=0 iui=0
_ds_load_u8_d16_hi v52, v[vgprLocalReadAddrA] offset:4867 // L -> Reg lro=4096 swapByteOffset=0 ti=256 vIdx=0 rIdx=3 oIdx=0 buffer=0 iui=0
_ds_load_u8 v[vgprValuB_X0_I0+1], v[vgprLocalReadAddrB] offset:4097 // L -> Reg lro=4096 swapByteOffset=0 ti=256 vIdx=0 rIdx=0 oIdx=0 buffer=0 iui=0
_ds_load_u8 v56, v[vgprLocalReadAddrB] offset:4353 // L -> Reg lro=4096 swapByteOffset=0 ti=256 vIdx=0 rIdx=1 oIdx=0 buffer=0 iui=0
_ds_load_u8_d16_hi v57, v[vgprLocalReadAddrB] offset:4609 // L -> Reg lro=4096 swapByteOffset=0 ti=256 vIdx=0 rIdx=2 oIdx=0 buffer=0 iui=0
_ds_load_u8_d16_hi v58, v[vgprLocalReadAddrB] offset:4865 // L -> Reg lro=4096 swapByteOffset=0 ti=256 vIdx=0 rIdx=3 oIdx=0 buffer=0 iui=0
/* pack scheduling: packAIdx:12, packBIdx:3 */
_v_lshl_or_b32 v[vgprValuB_X1_I0+3], v86, 0x8, v[vgprValuB_X1_I0+3] // pack two int8 Vgpr to one half Vgpr
_v_lshl_or_b32 v87, v88, 0x8, v87                  // pack two int8 Vgpr to one half Vgpr
v_or_b32 v[vgprValuB_X1_I0+3], v[vgprValuB_X1_I0+3], v87 // pack two half Vgpr to one Vgpr
v_mfma_i32_32x32x8i8 a[48+0:63+0], v[vgprValuA_X1_I0+3+0+0], v[vgprValuB_X1_I0+0+0+0], a[48:63]
/*  mfmaIndex:20  */
_ds_load_u8 v[vgprValuB_X0_I0+2], v[vgprLocalReadAddrB] offset:4098 // L -> Reg lro=4096 swapByteOffset=0 ti=256 vIdx=0 rIdx=0 oIdx=0 buffer=0 iui=0
_ds_load_u8 v59, v[vgprLocalReadAddrB] offset:4354 // L -> Reg lro=4096 swapByteOffset=0 ti=256 vIdx=0 rIdx=1 oIdx=0 buffer=0 iui=0
_ds_load_u8_d16_hi v60, v[vgprLocalReadAddrB] offset:4610 // L -> Reg lro=4096 swapByteOffset=0 ti=256 vIdx=0 rIdx=2 oIdx=0 buffer=0 iui=0
_ds_load_u8_d16_hi v61, v[vgprLocalReadAddrB] offset:4866 // L -> Reg lro=4096 swapByteOffset=0 ti=256 vIdx=0 rIdx=3 oIdx=0 buffer=0 iui=0
_ds_load_u8 v[vgprValuB_X0_I0+3], v[vgprLocalReadAddrB] offset:4099 // L -> Reg lro=4096 swapByteOffset=0 ti=256 vIdx=0 rIdx=0 oIdx=0 buffer=0 iui=0
_ds_load_u8 v62, v[vgprLocalReadAddrB] offset:4355 // L -> Reg lro=4096 swapByteOffset=0 ti=256 vIdx=0 rIdx=1 oIdx=0 buffer=0 iui=0
v_mfma_i32_32x32x8i8 a[112+0:127+0], v[vgprValuA_X1_I0+3+0+0], v[vgprValuB_X1_I0+1+0+0], a[112:127]
/*  mfmaIndex:21  */
_ds_load_u8_d16_hi v63, v[vgprLocalReadAddrB] offset:4611 // L -> Reg lro=4096 swapByteOffset=0 ti=256 vIdx=0 rIdx=2 oIdx=0 buffer=0 iui=0
_ds_load_u8_d16_hi v64, v[vgprLocalReadAddrB] offset:4867 // L -> Reg lro=4096 swapByteOffset=0 ti=256 vIdx=0 rIdx=3 oIdx=0 buffer=0 iui=0
/* localReadsVacancy: latencyLeft 9 */
v_mfma_i32_32x32x8i8 a[96+0:111+0], v[vgprValuA_X1_I0+2+0+0], v[vgprValuB_X1_I0+1+0+0], a[96:111]
/*  mfmaIndex:22  */
/* localReadsVacancy: latencyLeft 13 */
v_mfma_i32_32x32x8i8 a[80+0:95+0], v[vgprValuA_X1_I0+1+0+0], v[vgprValuB_X1_I0+1+0+0], a[80:95]
/*  mfmaIndex:23  */
/* localReadsVacancy: latencyLeft 13 */
v_mfma_i32_32x32x8i8 a[64+0:79+0], v[vgprValuA_X1_I0+0+0+0], v[vgprValuB_X1_I0+1+0+0], a[64:79]
/*  mfmaIndex:24  */
/* localReadsVacancy: latencyLeft 13 */
v_mfma_i32_32x32x8i8 a[128+0:143+0], v[vgprValuA_X1_I0+0+0+0], v[vgprValuB_X1_I0+2+0+0], a[128:143]
/*  mfmaIndex:25  */
/* localReadsVacancy: latencyLeft 13 */
v_mfma_i32_32x32x8i8 a[144+0:159+0], v[vgprValuA_X1_I0+1+0+0], v[vgprValuB_X1_I0+2+0+0], a[144:159]
/*  mfmaIndex:26  */
/* localReadsVacancy: latencyLeft 13 */
v_mfma_i32_32x32x8i8 a[160+0:175+0], v[vgprValuA_X1_I0+2+0+0], v[vgprValuB_X1_I0+2+0+0], a[160:175]
/*  mfmaIndex:27  */
/* localReadsVacancy: latencyLeft 13 */
v_mfma_i32_32x32x8i8 a[176+0:191+0], v[vgprValuA_X1_I0+3+0+0], v[vgprValuB_X1_I0+2+0+0], a[176:191]
/*  mfmaIndex:28  */
/* localReadsVacancy: latencyLeft 13 */
v_mfma_i32_32x32x8i8 a[240+0:255+0], v[vgprValuA_X1_I0+3+0+0], v[vgprValuB_X1_I0+3+0+0], a[240:255]
/*  mfmaIndex:29  */
/* localReadsVacancy: latencyLeft 13 */
v_mfma_i32_32x32x8i8 a[224+0:239+0], v[vgprValuA_X1_I0+2+0+0], v[vgprValuB_X1_I0+3+0+0], a[224:239]
/*  mfmaIndex:30  */
/* localReadsVacancy: latencyLeft 13 */
v_mfma_i32_32x32x8i8 a[208+0:223+0], v[vgprValuA_X1_I0+1+0+0], v[vgprValuB_X1_I0+3+0+0], a[208:223]
/*  mfmaIndex:31  */
/* localReadsVacancy: latencyLeft 13 */
v_mfma_i32_32x32x8i8 a[192+0:207+0], v[vgprValuA_X1_I0+0+0+0], v[vgprValuB_X1_I0+3+0+0], a[192:207]
/* numPrefetchIter=0 */
/* dataAtIterA=0 numReadsIterA=2 skipReadsIterA=1 readsPerIterA=16 */
/* dataAtIterB=0 numReadsIterB=2 skipReadsIterB=1 readsPerIterB=16 */


/* iter 2 (last unrolled loop) */

/*  grEndMfmaIndex:0, lwStartMfmaIndex:55, lwEndMfmaIndex:55  */
/*  numMfmaForLR:6, barrierMfmaIndex:57 */
/*  mfmaIndex:32  */
_ds_load_u8 v[vgprValuA_X1_I0+0], v[vgprLocalReadAddrA] offset:6144 // L -> Reg lro=6144 swapByteOffset=0 ti=256 vIdx=0 rIdx=0 oIdx=0 buffer=1 iui=0
_ds_load_u8 v65, v[vgprLocalReadAddrA] offset:6400 // L -> Reg lro=6144 swapByteOffset=0 ti=256 vIdx=0 rIdx=1 oIdx=0 buffer=1 iui=0
_ds_load_u8_d16_hi v66, v[vgprLocalReadAddrA] offset:6656 // L -> Reg lro=6144 swapByteOffset=0 ti=256 vIdx=0 rIdx=2 oIdx=0 buffer=1 iui=0
_ds_load_u8_d16_hi v67, v[vgprLocalReadAddrA] offset:6912 // L -> Reg lro=6144 swapByteOffset=0 ti=256 vIdx=0 rIdx=3 oIdx=0 buffer=1 iui=0
_ds_load_u8 v[vgprValuB_X1_I0+0], v[vgprLocalReadAddrB] offset:6144 // L -> Reg lro=6144 swapByteOffset=0 ti=256 vIdx=0 rIdx=0 oIdx=0 buffer=1 iui=0
_ds_load_u8 v77, v[vgprLocalReadAddrB] offset:6400 // L -> Reg lro=6144 swapByteOffset=0 ti=256 vIdx=0 rIdx=1 oIdx=0 buffer=1 iui=0
s_waitcnt lgkmcnt(6)                               // lgkmcnt=0 vmcnt=-1wait for prior local read local write old=0, new=6 newLW=0 newLR=6
/* pack scheduling: packAIdx:3, packBIdx:3 */
_v_lshl_or_b32 v[vgprValuA_X0_I0+0], v41, 0x8, v[vgprValuA_X0_I0+0] // pack two int8 Vgpr to one half Vgpr
_v_lshl_or_b32 v42, v43, 0x8, v42                  // pack two int8 Vgpr to one half Vgpr
v_or_b32 v[vgprValuA_X0_I0+0], v[vgprValuA_X0_I0+0], v42 // pack two half Vgpr to one Vgpr
_v_lshl_or_b32 v[vgprValuB_X0_I0+0], v53, 0x8, v[vgprValuB_X0_I0+0] // pack two int8 Vgpr to one half Vgpr
_v_lshl_or_b32 v54, v55, 0x8, v54                  // pack two int8 Vgpr to one half Vgpr
v_or_b32 v[vgprValuB_X0_I0+0], v[vgprValuB_X0_I0+0], v54 // pack two half Vgpr to one Vgpr
_v_lshl_or_b32 v[vgprValuA_X0_I0+1], v44, 0x8, v[vgprValuA_X0_I0+1] // pack two int8 Vgpr to one half Vgpr
_v_lshl_or_b32 v45, v46, 0x8, v45                  // pack two int8 Vgpr to one half Vgpr
v_or_b32 v[vgprValuA_X0_I0+1], v[vgprValuA_X0_I0+1], v45 // pack two half Vgpr to one Vgpr
v_mfma_i32_32x32x8i8 a[0+0:15+0], v[vgprValuA_X0_I0+0+0+0], v[vgprValuB_X0_I0+0+0+0], a[0:15]
/*  mfmaIndex:33  */
_ds_load_u8_d16_hi v78, v[vgprLocalReadAddrB] offset:6656 // L -> Reg lro=6144 swapByteOffset=0 ti=256 vIdx=0 rIdx=2 oIdx=0 buffer=1 iui=0
_ds_load_u8_d16_hi v79, v[vgprLocalReadAddrB] offset:6912 // L -> Reg lro=6144 swapByteOffset=0 ti=256 vIdx=0 rIdx=3 oIdx=0 buffer=1 iui=0
_ds_load_u8 v[vgprValuA_X1_I0+1], v[vgprLocalReadAddrA] offset:6145 // L -> Reg lro=6144 swapByteOffset=0 ti=256 vIdx=0 rIdx=0 oIdx=0 buffer=1 iui=0
_ds_load_u8 v68, v[vgprLocalReadAddrA] offset:6401 // L -> Reg lro=6144 swapByteOffset=0 ti=256 vIdx=0 rIdx=1 oIdx=0 buffer=1 iui=0
_ds_load_u8_d16_hi v69, v[vgprLocalReadAddrA] offset:6657 // L -> Reg lro=6144 swapByteOffset=0 ti=256 vIdx=0 rIdx=2 oIdx=0 buffer=1 iui=0
_ds_load_u8_d16_hi v70, v[vgprLocalReadAddrA] offset:6913 // L -> Reg lro=6144 swapByteOffset=0 ti=256 vIdx=0 rIdx=3 oIdx=0 buffer=1 iui=0
/* pack scheduling: packAIdx:6, packBIdx:3 */
_v_lshl_or_b32 v[vgprValuA_X0_I0+2], v47, 0x8, v[vgprValuA_X0_I0+2] // pack two int8 Vgpr to one half Vgpr
_v_lshl_or_b32 v48, v49, 0x8, v48                  // pack two int8 Vgpr to one half Vgpr
v_or_b32 v[vgprValuA_X0_I0+2], v[vgprValuA_X0_I0+2], v48 // pack two half Vgpr to one Vgpr
_v_lshl_or_b32 v[vgprValuA_X0_I0+3], v50, 0x8, v[vgprValuA_X0_I0+3] // pack two int8 Vgpr to one half Vgpr
_v_lshl_or_b32 v51, v52, 0x8, v51                  // pack two int8 Vgpr to one half Vgpr
v_or_b32 v[vgprValuA_X0_I0+3], v[vgprValuA_X0_I0+3], v51 // pack two half Vgpr to one Vgpr
v_mfma_i32_32x32x8i8 a[16+0:31+0], v[vgprValuA_X0_I0+1+0+0], v[vgprValuB_X0_I0+0+0+0], a[16:31]
/*  mfmaIndex:34  */
_ds_load_u8 v[vgprValuA_X1_I0+2], v[vgprLocalReadAddrA] offset:6146 // L -> Reg lro=6144 swapByteOffset=0 ti=256 vIdx=0 rIdx=0 oIdx=0 buffer=1 iui=0
_ds_load_u8 v71, v[vgprLocalReadAddrA] offset:6402 // L -> Reg lro=6144 swapByteOffset=0 ti=256 vIdx=0 rIdx=1 oIdx=0 buffer=1 iui=0
_ds_load_u8_d16_hi v72, v[vgprLocalReadAddrA] offset:6658 // L -> Reg lro=6144 swapByteOffset=0 ti=256 vIdx=0 rIdx=2 oIdx=0 buffer=1 iui=0
_ds_load_u8_d16_hi v73, v[vgprLocalReadAddrA] offset:6914 // L -> Reg lro=6144 swapByteOffset=0 ti=256 vIdx=0 rIdx=3 oIdx=0 buffer=1 iui=0
_ds_load_u8 v[vgprValuA_X1_I0+3], v[vgprLocalReadAddrA] offset:6147 // L -> Reg lro=6144 swapByteOffset=0 ti=256 vIdx=0 rIdx=0 oIdx=0 buffer=1 iui=0
_ds_load_u8 v74, v[vgprLocalReadAddrA] offset:6403 // L -> Reg lro=6144 swapByteOffset=0 ti=256 vIdx=0 rIdx=1 oIdx=0 buffer=1 iui=0
/* pack scheduling: packAIdx:9, packBIdx:3 */
_v_lshl_or_b32 v[vgprValuB_X0_I0+1], v56, 0x8, v[vgprValuB_X0_I0+1] // pack two int8 Vgpr to one half Vgpr
_v_lshl_or_b32 v57, v58, 0x8, v57                  // pack two int8 Vgpr to one half Vgpr
v_or_b32 v[vgprValuB_X0_I0+1], v[vgprValuB_X0_I0+1], v57 // pack two half Vgpr to one Vgpr
_v_lshl_or_b32 v[vgprValuB_X0_I0+2], v59, 0x8, v[vgprValuB_X0_I0+2] // pack two int8 Vgpr to one half Vgpr
_v_lshl_or_b32 v60, v61, 0x8, v60                  // pack two int8 Vgpr to one half Vgpr
v_or_b32 v[vgprValuB_X0_I0+2], v[vgprValuB_X0_I0+2], v60 // pack two half Vgpr to one Vgpr
v_mfma_i32_32x32x8i8 a[32+0:47+0], v[vgprValuA_X0_I0+2+0+0], v[vgprValuB_X0_I0+0+0+0], a[32:47]
/*  mfmaIndex:35  */
_ds_load_u8_d16_hi v75, v[vgprLocalReadAddrA] offset:6659 // L -> Reg lro=6144 swapByteOffset=0 ti=256 vIdx=0 rIdx=2 oIdx=0 buffer=1 iui=0
_ds_load_u8_d16_hi v76, v[vgprLocalReadAddrA] offset:6915 // L -> Reg lro=6144 swapByteOffset=0 ti=256 vIdx=0 rIdx=3 oIdx=0 buffer=1 iui=0
_ds_load_u8 v[vgprValuB_X1_I0+1], v[vgprLocalReadAddrB] offset:6145 // L -> Reg lro=6144 swapByteOffset=0 ti=256 vIdx=0 rIdx=0 oIdx=0 buffer=1 iui=0
_ds_load_u8 v80, v[vgprLocalReadAddrB] offset:6401 // L -> Reg lro=6144 swapByteOffset=0 ti=256 vIdx=0 rIdx=1 oIdx=0 buffer=1 iui=0
_ds_load_u8_d16_hi v81, v[vgprLocalReadAddrB] offset:6657 // L -> Reg lro=6144 swapByteOffset=0 ti=256 vIdx=0 rIdx=2 oIdx=0 buffer=1 iui=0
_ds_load_u8_d16_hi v82, v[vgprLocalReadAddrB] offset:6913 // L -> Reg lro=6144 swapByteOffset=0 ti=256 vIdx=0 rIdx=3 oIdx=0 buffer=1 iui=0
/* pack scheduling: packAIdx:12, packBIdx:3 */
_v_lshl_or_b32 v[vgprValuB_X0_I0+3], v62, 0x8, v[vgprValuB_X0_I0+3] // pack two int8 Vgpr to one half Vgpr
_v_lshl_or_b32 v63, v64, 0x8, v63                  // pack two int8 Vgpr to one half Vgpr
v_or_b32 v[vgprValuB_X0_I0+3], v[vgprValuB_X0_I0+3], v63 // pack two half Vgpr to one Vgpr
v_mfma_i32_32x32x8i8 a[48+0:63+0], v[vgprValuA_X0_I0+3+0+0], v[vgprValuB_X0_I0+0+0+0], a[48:63]
/*  mfmaIndex:36  */
_ds_load_u8 v[vgprValuB_X1_I0+2], v[vgprLocalReadAddrB] offset:6146 // L -> Reg lro=6144 swapByteOffset=0 ti=256 vIdx=0 rIdx=0 oIdx=0 buffer=1 iui=0
_ds_load_u8 v83, v[vgprLocalReadAddrB] offset:6402 // L -> Reg lro=6144 swapByteOffset=0 ti=256 vIdx=0 rIdx=1 oIdx=0 buffer=1 iui=0
_ds_load_u8_d16_hi v84, v[vgprLocalReadAddrB] offset:6658 // L -> Reg lro=6144 swapByteOffset=0 ti=256 vIdx=0 rIdx=2 oIdx=0 buffer=1 iui=0
_ds_load_u8_d16_hi v85, v[vgprLocalReadAddrB] offset:6914 // L -> Reg lro=6144 swapByteOffset=0 ti=256 vIdx=0 rIdx=3 oIdx=0 buffer=1 iui=0
_ds_load_u8 v[vgprValuB_X1_I0+3], v[vgprLocalReadAddrB] offset:6147 // L -> Reg lro=6144 swapByteOffset=0 ti=256 vIdx=0 rIdx=0 oIdx=0 buffer=1 iui=0
_ds_load_u8 v86, v[vgprLocalReadAddrB] offset:6403 // L -> Reg lro=6144 swapByteOffset=0 ti=256 vIdx=0 rIdx=1 oIdx=0 buffer=1 iui=0
v_mfma_i32_32x32x8i8 a[112+0:127+0], v[vgprValuA_X0_I0+3+0+0], v[vgprValuB_X0_I0+1+0+0], a[112:127]
/*  mfmaIndex:37  */
_ds_load_u8_d16_hi v87, v[vgprLocalReadAddrB] offset:6659 // L -> Reg lro=6144 swapByteOffset=0 ti=256 vIdx=0 rIdx=2 oIdx=0 buffer=1 iui=0
_ds_load_u8_d16_hi v88, v[vgprLocalReadAddrB] offset:6915 // L -> Reg lro=6144 swapByteOffset=0 ti=256 vIdx=0 rIdx=3 oIdx=0 buffer=1 iui=0
/* localReadsVacancy: latencyLeft 9 */
v_mfma_i32_32x32x8i8 a[96+0:111+0], v[vgprValuA_X0_I0+2+0+0], v[vgprValuB_X0_I0+1+0+0], a[96:111]
/*  mfmaIndex:38  */
/* localReadsVacancy: latencyLeft 13 */
v_mfma_i32_32x32x8i8 a[80+0:95+0], v[vgprValuA_X0_I0+1+0+0], v[vgprValuB_X0_I0+1+0+0], a[80:95]
/*  mfmaIndex:39  */
	;; [unrolled: 3-line block ×10, first 2 shown]
/* localReadsVacancy: latencyLeft 13 */
v_mfma_i32_32x32x8i8 a[192+0:207+0], v[vgprValuA_X0_I0+0+0+0], v[vgprValuB_X0_I0+3+0+0], a[192:207]
/* numPrefetchIter=0 */
/* dataAtIterA=1 numReadsIterA=3 skipReadsIterA=1 readsPerIterA=16 */
/* dataAtIterB=1 numReadsIterB=3 skipReadsIterB=1 readsPerIterB=16 */


/* iter 3 (last unrolled loop) */

/*  grEndMfmaIndex:0, lwStartMfmaIndex:55, lwEndMfmaIndex:55  */
/*  numMfmaForLR:6, barrierMfmaIndex:57 */
/*  mfmaIndex:48  */
s_waitcnt lgkmcnt(0)                               // lgkmcnt=0 vmcnt=-1wait for prior local read local write old=0, new=0 newLW=0 newLR=0
/* pack scheduling: packAIdx:3, packBIdx:3 */
_v_lshl_or_b32 v[vgprValuA_X1_I0+0], v65, 0x8, v[vgprValuA_X1_I0+0] // pack two int8 Vgpr to one half Vgpr
_v_lshl_or_b32 v66, v67, 0x8, v66                  // pack two int8 Vgpr to one half Vgpr
v_or_b32 v[vgprValuA_X1_I0+0], v[vgprValuA_X1_I0+0], v66 // pack two half Vgpr to one Vgpr
_v_lshl_or_b32 v[vgprValuB_X1_I0+0], v77, 0x8, v[vgprValuB_X1_I0+0] // pack two int8 Vgpr to one half Vgpr
_v_lshl_or_b32 v78, v79, 0x8, v78                  // pack two int8 Vgpr to one half Vgpr
v_or_b32 v[vgprValuB_X1_I0+0], v[vgprValuB_X1_I0+0], v78 // pack two half Vgpr to one Vgpr
_v_lshl_or_b32 v[vgprValuA_X1_I0+1], v68, 0x8, v[vgprValuA_X1_I0+1] // pack two int8 Vgpr to one half Vgpr
_v_lshl_or_b32 v69, v70, 0x8, v69                  // pack two int8 Vgpr to one half Vgpr
v_or_b32 v[vgprValuA_X1_I0+1], v[vgprValuA_X1_I0+1], v69 // pack two half Vgpr to one Vgpr
v_mfma_i32_32x32x8i8 a[0+0:15+0], v[vgprValuA_X1_I0+0+0+0], v[vgprValuB_X1_I0+0+0+0], a[0:15]
/*  mfmaIndex:49  */
/* pack scheduling: packAIdx:6, packBIdx:3 */
_v_lshl_or_b32 v[vgprValuA_X1_I0+2], v71, 0x8, v[vgprValuA_X1_I0+2] // pack two int8 Vgpr to one half Vgpr
_v_lshl_or_b32 v72, v73, 0x8, v72                  // pack two int8 Vgpr to one half Vgpr
v_or_b32 v[vgprValuA_X1_I0+2], v[vgprValuA_X1_I0+2], v72 // pack two half Vgpr to one Vgpr
_v_lshl_or_b32 v[vgprValuA_X1_I0+3], v74, 0x8, v[vgprValuA_X1_I0+3] // pack two int8 Vgpr to one half Vgpr
_v_lshl_or_b32 v75, v76, 0x8, v75                  // pack two int8 Vgpr to one half Vgpr
v_or_b32 v[vgprValuA_X1_I0+3], v[vgprValuA_X1_I0+3], v75 // pack two half Vgpr to one Vgpr
v_mfma_i32_32x32x8i8 a[16+0:31+0], v[vgprValuA_X1_I0+1+0+0], v[vgprValuB_X1_I0+0+0+0], a[16:31]
/*  mfmaIndex:50  */
/* pack scheduling: packAIdx:9, packBIdx:3 */
_v_lshl_or_b32 v[vgprValuB_X1_I0+1], v80, 0x8, v[vgprValuB_X1_I0+1] // pack two int8 Vgpr to one half Vgpr
_v_lshl_or_b32 v81, v82, 0x8, v81                  // pack two int8 Vgpr to one half Vgpr
v_or_b32 v[vgprValuB_X1_I0+1], v[vgprValuB_X1_I0+1], v81 // pack two half Vgpr to one Vgpr
_v_lshl_or_b32 v[vgprValuB_X1_I0+2], v83, 0x8, v[vgprValuB_X1_I0+2] // pack two int8 Vgpr to one half Vgpr
_v_lshl_or_b32 v84, v85, 0x8, v84                  // pack two int8 Vgpr to one half Vgpr
v_or_b32 v[vgprValuB_X1_I0+2], v[vgprValuB_X1_I0+2], v84 // pack two half Vgpr to one Vgpr
v_mfma_i32_32x32x8i8 a[32+0:47+0], v[vgprValuA_X1_I0+2+0+0], v[vgprValuB_X1_I0+0+0+0], a[32:47]
/*  mfmaIndex:51  */
/* pack scheduling: packAIdx:12, packBIdx:3 */
_v_lshl_or_b32 v[vgprValuB_X1_I0+3], v86, 0x8, v[vgprValuB_X1_I0+3] // pack two int8 Vgpr to one half Vgpr
_v_lshl_or_b32 v87, v88, 0x8, v87                  // pack two int8 Vgpr to one half Vgpr
v_or_b32 v[vgprValuB_X1_I0+3], v[vgprValuB_X1_I0+3], v87 // pack two half Vgpr to one Vgpr
v_mfma_i32_32x32x8i8 a[48+0:63+0], v[vgprValuA_X1_I0+3+0+0], v[vgprValuB_X1_I0+0+0+0], a[48:63]
/*  mfmaIndex:52  */
v_mfma_i32_32x32x8i8 a[112+0:127+0], v[vgprValuA_X1_I0+3+0+0], v[vgprValuB_X1_I0+1+0+0], a[112:127]
/*  mfmaIndex:53  */
	;; [unrolled: 2-line block ×12, first 2 shown]
v_mfma_i32_32x32x8i8 a[192+0:207+0], v[vgprValuA_X1_I0+0+0+0], v[vgprValuB_X1_I0+3+0+0], a[192:207]
/* numPrefetchIter=0 */
/* dataAtIterA=2 numReadsIterA=3 skipReadsIterA=0 readsPerIterA=16 */
/* dataAtIterB=2 numReadsIterB=3 skipReadsIterB=0 readsPerIterB=16 */

PrefetchGlobalLastIterEnd_5:


/******************************************/
/* Tail Loop                              */
/******************************************/


/* local write reset offsets a */


v_and_b32 v[vgprLocalWriteAddrA], 0xf03fff, v[vgprLocalWriteAddrA] // reset to Red


/* local write reset offsets b */


v_and_b32 v[vgprLocalWriteAddrB], 0xf03fff, v[vgprLocalWriteAddrB] // reset to Red


//numIterL = (((sizeL % LOCAL_DEPTHU) + LOCAL_SPLITU - 1) / LOCAL_SPLITU)
s_and_b32 s[sgprLoopCounterL], 31, s[sgprSizesSum+0] // s[sgprLoopCounterL] = s[sgprSizesSum+0] % 32
s_cmp_eq_u32 s[sgprLoopCounterL], 0x0              // numIterL == 0
s_cbranch_scc1 SkipTailLoopL_8                     // skip to end of tail loop b/c numIter==0
s_mov_b32 s[sgprOrigLoopCounter], 0                // repurpose to count each localRead increment


/* Update M0 for DTLDS */



/* global read a */

/* g2l=0, load component 0 */
_buffer_load_b64 v[vgprG2LA+0+0:vgprG2LA+0+0+1], v[vgprGlobalReadOffsetA+0], s[sgprSrdA:sgprSrdA+3], 0, offen offset:0 // load packed 8X buffer value
/* g2l=0, load component 8 */
_buffer_load_b64 v[vgprG2LA+0+2:vgprG2LA+0+2+1], v[vgprGlobalReadOffsetA+0], s[sgprSrdA:sgprSrdA+3], 0, offen offset:8 // load packed 8X buffer value
	;; [unrolled: 2-line block ×4, first 2 shown]


/* Update M0 for DTLDS */


	;; [unrolled: 1-line block ×3, first 2 shown]
/* global read b */

/* g2l=0, load component 0 */
_buffer_load_d16_u8 v[vgprG2LB+0+0], v[vgprGlobalReadOffsetB+0], s[sgprSrdB:sgprSrdB+3], 0, offen offset:0 // load one buffer value
/* g2l=0, load component 1 */
_buffer_load_d16_u8 v41, v[vgprGlobalReadOffsetB+0], s[sgprSrdB:sgprSrdB+3], 0, offen offset:1 // load one buffer value
/* g2l=0, load component 2 */
_buffer_load_d16_hi_u8 v42, v[vgprGlobalReadOffsetB+0], s[sgprSrdB:sgprSrdB+3], 0, offen offset:2 // load one buffer value
/* g2l=0, load component 3 */
_buffer_load_d16_hi_u8 v43, v[vgprGlobalReadOffsetB+0], s[sgprSrdB:sgprSrdB+3], 0, offen offset:3 // load one buffer value
/* g2l=0, load component 4 */
_buffer_load_d16_u8 v[vgprG2LB+0+1], v[vgprGlobalReadOffsetB+0], s[sgprSrdB:sgprSrdB+3], 0, offen offset:4 // load one buffer value
/* g2l=0, load component 5 */
_buffer_load_d16_u8 v45, v[vgprGlobalReadOffsetB+0], s[sgprSrdB:sgprSrdB+3], 0, offen offset:5 // load one buffer value
/* g2l=0, load component 6 */
_buffer_load_d16_hi_u8 v46, v[vgprGlobalReadOffsetB+0], s[sgprSrdB:sgprSrdB+3], 0, offen offset:6 // load one buffer value
/* g2l=0, load component 7 */
_buffer_load_d16_hi_u8 v47, v[vgprGlobalReadOffsetB+0], s[sgprSrdB:sgprSrdB+3], 0, offen offset:7 // load one buffer value
	;; [unrolled: 8-line block ×4, first 2 shown]
s_waitcnt vmcnt(14)
v_lshlrev_b32 v41, 0x8, v41                        // shift left to higher 8 bits
v_or_b32 v[vgprG2LB+0+0], v[vgprG2LB+0+0], v41     // pack a sub 8-bit with dest
s_waitcnt vmcnt(13)
v_or_b32 v[vgprG2LB+0+0], v[vgprG2LB+0+0], v42     // pack a sub 8-bit with dest
s_waitcnt vmcnt(12)
v_lshlrev_b32 v43, 0x8, v43                        // shift left to higher 8 bits
v_or_b32 v[vgprG2LB+0+0], v[vgprG2LB+0+0], v43     // pack a sub 8-bit with dest
s_waitcnt vmcnt(10)
v_lshlrev_b32 v45, 0x8, v45                        // shift left to higher 8 bits
v_or_b32 v[vgprG2LB+0+1], v[vgprG2LB+0+1], v45     // pack a sub 8-bit with dest
s_waitcnt vmcnt(9)
v_or_b32 v[vgprG2LB+0+1], v[vgprG2LB+0+1], v46     // pack a sub 8-bit with dest
s_waitcnt vmcnt(8)
v_lshlrev_b32 v47, 0x8, v47                        // shift left to higher 8 bits
v_or_b32 v[vgprG2LB+0+1], v[vgprG2LB+0+1], v47     // pack a sub 8-bit with dest
	;; [unrolled: 8-line block ×4, first 2 shown]
/* g2l=4, load component 0 */
_buffer_load_d16_u8 v[vgprG2LB+4+0], v[vgprGlobalReadOffsetB+1], s[sgprSrdB:sgprSrdB+3], 0, offen offset:0 // load one buffer value
/* g2l=4, load component 1 */
_buffer_load_d16_u8 v41, v[vgprGlobalReadOffsetB+1], s[sgprSrdB:sgprSrdB+3], 0, offen offset:1 // load one buffer value
/* g2l=4, load component 2 */
_buffer_load_d16_hi_u8 v42, v[vgprGlobalReadOffsetB+1], s[sgprSrdB:sgprSrdB+3], 0, offen offset:2 // load one buffer value
/* g2l=4, load component 3 */
_buffer_load_d16_hi_u8 v43, v[vgprGlobalReadOffsetB+1], s[sgprSrdB:sgprSrdB+3], 0, offen offset:3 // load one buffer value
/* g2l=4, load component 4 */
_buffer_load_d16_u8 v[vgprG2LB+4+1], v[vgprGlobalReadOffsetB+1], s[sgprSrdB:sgprSrdB+3], 0, offen offset:4 // load one buffer value
/* g2l=4, load component 5 */
_buffer_load_d16_u8 v45, v[vgprGlobalReadOffsetB+1], s[sgprSrdB:sgprSrdB+3], 0, offen offset:5 // load one buffer value
/* g2l=4, load component 6 */
_buffer_load_d16_hi_u8 v46, v[vgprGlobalReadOffsetB+1], s[sgprSrdB:sgprSrdB+3], 0, offen offset:6 // load one buffer value
/* g2l=4, load component 7 */
_buffer_load_d16_hi_u8 v47, v[vgprGlobalReadOffsetB+1], s[sgprSrdB:sgprSrdB+3], 0, offen offset:7 // load one buffer value
	;; [unrolled: 8-line block ×4, first 2 shown]
s_waitcnt vmcnt(14)
v_lshlrev_b32 v41, 0x8, v41                        // shift left to higher 8 bits
v_or_b32 v[vgprG2LB+4+0], v[vgprG2LB+4+0], v41     // pack a sub 8-bit with dest
s_waitcnt vmcnt(13)
v_or_b32 v[vgprG2LB+4+0], v[vgprG2LB+4+0], v42     // pack a sub 8-bit with dest
s_waitcnt vmcnt(12)
v_lshlrev_b32 v43, 0x8, v43                        // shift left to higher 8 bits
v_or_b32 v[vgprG2LB+4+0], v[vgprG2LB+4+0], v43     // pack a sub 8-bit with dest
s_waitcnt vmcnt(10)
v_lshlrev_b32 v45, 0x8, v45                        // shift left to higher 8 bits
v_or_b32 v[vgprG2LB+4+1], v[vgprG2LB+4+1], v45     // pack a sub 8-bit with dest
s_waitcnt vmcnt(9)
v_or_b32 v[vgprG2LB+4+1], v[vgprG2LB+4+1], v46     // pack a sub 8-bit with dest
s_waitcnt vmcnt(8)
v_lshlrev_b32 v47, 0x8, v47                        // shift left to higher 8 bits
v_or_b32 v[vgprG2LB+4+1], v[vgprG2LB+4+1], v47     // pack a sub 8-bit with dest
	;; [unrolled: 8-line block ×4, first 2 shown]

s_waitcnt vmcnt(0)                                 // lgkmcnt=-1 vmcnt=02wait for global read

s_waitcnt lgkmcnt(0) & vmcnt(0)                    // force waitcnt0
s_barrier //


/* Done global A/B reads */


	;; [unrolled: 1-line block ×4, first 2 shown]
/* local write a */

_ds_store_b128 v[vgprLocalWriteAddrA], v[vgprG2LA+0:vgprG2LA+0+3] offset:0 // lwoA_0_0_0_0 = (0*LSCA) + (0*LSPA)(*MT0I+PAD) = 0
_ds_store_b128 v[vgprLocalWriteAddrA], v[vgprG2LA+4:vgprG2LA+4+3] offset:1024 // lwoA_0_0_1_0 = (0*LSCA) + (1*LSPA)(*MT0I+PAD) = 1024


/* local write b */

_ds_store_b128 v[vgprLocalWriteAddrB], v[vgprG2LB+0:vgprG2LB+0+3] offset:0 // lwoB_0_0_0_0 = (0*LSCB) + (0*LSPB)(*MT1J+PAD) = 0
_ds_store_b128 v[vgprLocalWriteAddrB], v[vgprG2LB+4:vgprG2LB+4+3] offset:1024 // lwoB_0_0_1_0 = (0*LSCB) + (1*LSPB)(*MT1J+PAD) = 1024


/* Recalc local read offsets */


s_waitcnt lgkmcnt(0)                               // lgkmcnt=0 vmcnt=-15wait for local write

s_waitcnt lgkmcnt(0) & vmcnt(0)                    // force waitcnt0
s_barrier //


/* local read reset offsets a */


/* localReadResetOffsets */
/* handled internally */
v_and_b32 v[vgprLocalReadAddrA], 0x3fff, v[vgprLocalReadAddrA] // reset Red,Blk -> Red


/* local read reset offsets b */


/* localReadResetOffsets */
/* handled internally */
v_and_b32 v[vgprLocalReadAddrB], 0x3fff, v[vgprLocalReadAddrB] // reset Red,Blk -> Red


/* local read init pointers a */


/* localReadInitPointers */


/* local read init pointers b */


/* localReadInitPointers */


/* tail loop: macs */

TailLoopBeginL_6:


/* local read a */

_ds_load_u8 v[vgprValuA_X0_I0+0], v[vgprLocalReadAddrA] offset:0 // L -> Reg lro=0 swapByteOffset=0 ti=256 vIdx=0 rIdx=0 oIdx=0 buffer=0 iui=0
_ds_load_u8 v41, v[vgprLocalReadAddrA] offset:256  // L -> Reg lro=0 swapByteOffset=0 ti=256 vIdx=0 rIdx=1 oIdx=0 buffer=0 iui=0
_ds_load_u8_d16_hi v42, v[vgprLocalReadAddrA] offset:512 // L -> Reg lro=0 swapByteOffset=0 ti=256 vIdx=0 rIdx=2 oIdx=0 buffer=0 iui=0
_ds_load_u8_d16_hi v43, v[vgprLocalReadAddrA] offset:768 // L -> Reg lro=0 swapByteOffset=0 ti=256 vIdx=0 rIdx=3 oIdx=0 buffer=0 iui=0
_ds_load_u8 v[vgprValuA_X0_I0+1], v[vgprLocalReadAddrA] offset:1 // L -> Reg lro=0 swapByteOffset=0 ti=256 vIdx=0 rIdx=0 oIdx=0 buffer=0 iui=0
_ds_load_u8 v44, v[vgprLocalReadAddrA] offset:257  // L -> Reg lro=0 swapByteOffset=0 ti=256 vIdx=0 rIdx=1 oIdx=0 buffer=0 iui=0
_ds_load_u8_d16_hi v45, v[vgprLocalReadAddrA] offset:513 // L -> Reg lro=0 swapByteOffset=0 ti=256 vIdx=0 rIdx=2 oIdx=0 buffer=0 iui=0
_ds_load_u8_d16_hi v46, v[vgprLocalReadAddrA] offset:769 // L -> Reg lro=0 swapByteOffset=0 ti=256 vIdx=0 rIdx=3 oIdx=0 buffer=0 iui=0
	;; [unrolled: 4-line block ×4, first 2 shown]


/* local read b */

_ds_load_u8 v[vgprValuB_X0_I0+0], v[vgprLocalReadAddrB] offset:0 // L -> Reg lro=0 swapByteOffset=0 ti=256 vIdx=0 rIdx=0 oIdx=0 buffer=0 iui=0
_ds_load_u8 v53, v[vgprLocalReadAddrB] offset:256  // L -> Reg lro=0 swapByteOffset=0 ti=256 vIdx=0 rIdx=1 oIdx=0 buffer=0 iui=0
_ds_load_u8_d16_hi v54, v[vgprLocalReadAddrB] offset:512 // L -> Reg lro=0 swapByteOffset=0 ti=256 vIdx=0 rIdx=2 oIdx=0 buffer=0 iui=0
_ds_load_u8_d16_hi v55, v[vgprLocalReadAddrB] offset:768 // L -> Reg lro=0 swapByteOffset=0 ti=256 vIdx=0 rIdx=3 oIdx=0 buffer=0 iui=0
_ds_load_u8 v[vgprValuB_X0_I0+1], v[vgprLocalReadAddrB] offset:1 // L -> Reg lro=0 swapByteOffset=0 ti=256 vIdx=0 rIdx=0 oIdx=0 buffer=0 iui=0
_ds_load_u8 v56, v[vgprLocalReadAddrB] offset:257  // L -> Reg lro=0 swapByteOffset=0 ti=256 vIdx=0 rIdx=1 oIdx=0 buffer=0 iui=0
_ds_load_u8_d16_hi v57, v[vgprLocalReadAddrB] offset:513 // L -> Reg lro=0 swapByteOffset=0 ti=256 vIdx=0 rIdx=2 oIdx=0 buffer=0 iui=0
_ds_load_u8_d16_hi v58, v[vgprLocalReadAddrB] offset:769 // L -> Reg lro=0 swapByteOffset=0 ti=256 vIdx=0 rIdx=3 oIdx=0 buffer=0 iui=0
	;; [unrolled: 4-line block ×4, first 2 shown]


/* local read inc a */

s_mov_b32 s42, 0x800                               // inc
_v_add_co_u32 v[vgprLocalReadAddrA], vcc, s42, v[vgprLocalReadAddrA] // lrA += 2048 (LSU*(MT+PAD)*bpe)


/* local read inc b */

s_mov_b32 s42, 0x800                               // inc
_v_add_co_u32 v[vgprLocalReadAddrB], vcc, s42, v[vgprLocalReadAddrB] // lrB += 2048 (LSU*(MT+PAD)*bpe)

s_waitcnt lgkmcnt(0)                               // lgkmcnt=0 vmcnt=-14wait for local read

_v_lshl_or_b32 v[vgprValuA_X0_I0+0], v41, 0x8, v[vgprValuA_X0_I0+0] // pack two int8 Vgpr to one half Vgpr
_v_lshl_or_b32 v42, v43, 0x8, v42                  // pack two int8 Vgpr to one half Vgpr
v_or_b32 v[vgprValuA_X0_I0+0], v[vgprValuA_X0_I0+0], v42 // pack two half Vgpr to one Vgpr
_v_lshl_or_b32 v[vgprValuA_X0_I0+1], v44, 0x8, v[vgprValuA_X0_I0+1] // pack two int8 Vgpr to one half Vgpr
_v_lshl_or_b32 v45, v46, 0x8, v45                  // pack two int8 Vgpr to one half Vgpr
v_or_b32 v[vgprValuA_X0_I0+1], v[vgprValuA_X0_I0+1], v45 // pack two half Vgpr to one Vgpr
	;; [unrolled: 3-line block ×4, first 2 shown]
_v_lshl_or_b32 v[vgprValuB_X0_I0+0], v53, 0x8, v[vgprValuB_X0_I0+0] // pack two int8 Vgpr to one half Vgpr
_v_lshl_or_b32 v54, v55, 0x8, v54                  // pack two int8 Vgpr to one half Vgpr
v_or_b32 v[vgprValuB_X0_I0+0], v[vgprValuB_X0_I0+0], v54 // pack two half Vgpr to one Vgpr
_v_lshl_or_b32 v[vgprValuB_X0_I0+1], v56, 0x8, v[vgprValuB_X0_I0+1] // pack two int8 Vgpr to one half Vgpr
_v_lshl_or_b32 v57, v58, 0x8, v57                  // pack two int8 Vgpr to one half Vgpr
v_or_b32 v[vgprValuB_X0_I0+1], v[vgprValuB_X0_I0+1], v57 // pack two half Vgpr to one Vgpr
	;; [unrolled: 3-line block ×4, first 2 shown]

s_nop 1
v_mfma_i32_32x32x8i8 a[0+0:15+0], v[vgprValuA_X0_I0+0+0+0], v[vgprValuB_X0_I0+0+0+0], a[0:15]
v_mfma_i32_32x32x8i8 a[16+0:31+0], v[vgprValuA_X0_I0+1+0+0], v[vgprValuB_X0_I0+0+0+0], a[16:31]
	;; [unrolled: 1-line block ×16, first 2 shown]


/* closeLoop loopL finalLoop=1 tailLoop=1 */
s_sub_i32 s[sgprLoopCounterL], s[sgprLoopCounterL], 0x8 // dec counterL (tailLoop)
s_add_u32 s[sgprOrigLoopCounter], s[sgprOrigLoopCounter], 0x8 // inc counterL
s_cmp_le_i32 s[sgprLoopCounterL], 0x0              // counterL<=0
s_cbranch_scc0 TailLoopBeginL_6                    // restart LoopL
TailLoopEndL_7:
s_mov_b32 s42, 256                                 // tailloop lds offset
s_mul_i32 s42, s[sgprOrigLoopCounter], s42         // scale by mul
_v_sub_u32 v[vgprLocalReadAddrA], v[vgprLocalReadAddrA], s42 // remove lro damage
s_mov_b32 s42, 256                                 // tailloop lds offset
s_mul_i32 s42, s[sgprOrigLoopCounter], s42         // scale by mul
_v_sub_u32 v[vgprLocalReadAddrB], v[vgprLocalReadAddrB], s42 // remove lro damage

SkipTailLoopL_8:

Summation_End_32:
/* endSummation: add vgpr [0...38) to pool */

/* Mapping of Acc register -> C Vgpr register */


/* shift vector components d0 */

v_mov_b32 v1, s[sgprWorkGroup0]                    // 
v_mul_i32_i24 v1, -0x100, v1                       // wg*MT
_v_add_co_u32 v1, vcc, s[sgprSizesFree+0], v1      // wgMT = Size - wg*MT
v_mov_b32 v2, 0x100                                // MT
v_min_u32 v1, v2, v1                               // wgMT = (wgMT < MT) ? wgMT : MT
v_lshrrev_b32 v0, 6, v[vgprSerial]                 // v0 = v[vgprSerial] / 64
v_and_b32 v3, 1, v0                                // v3 = v0 % 2
v_lshrrev_b32 v0, 7, v1                            // v0 = v1 / 128
v_and_b32 v4, 1, v0                                // v4 = v0 % 2
v_cmp_eq_u32 s[42:43], v4, v3                      // wave_id == block_belong_to_wave?
v_cndmask_b32 v1, v2, v1, s[42:43]                 // wgMT = (wgMT < MT) ? wgMT : MT

/* mbReg: which mb block need to shift, mb(matrixInstCoal(32) * VectorWidth(4)) */
v_lshrrev_b32 v2, 5, v1                            // v2 = v1 / 32
v_lshlrev_b32 v4, 0x2, v3                          // v4 = v3 * 4
_v_sub_u32 v2, v2, v4                              // 

/* gbReg: glvw block id */
v_lshrrev_b32 v4, 4, v1                            // v4 = v1 / 16

/* tgbReg: glvw block id */
v_lshrrev_b32 v0, 5, v[vgprSerial]                 // v0 = v[vgprSerial] / 32
v_and_b32 v5, 1, v0                                // v5 = v0 % 2
v_lshlrev_b32 v5, 0x4, v5                          // v5 = v5 * 16
v_lshrrev_b32 v5, 4, v5                            // v5 = v5 / 16
v_lshlrev_b32 v3, 0x3, v3                          // v3 = v3 * 8
_v_add_co_u32 v5, vcc, v3, v5                      // tgbReg = (tid_coal * continOut) / GLVW
_v_sub_u32 v4, v4, v5                              // 

/* vwReg: glvw in which vw block? */
v_and_b32 v3, 15, v1                               // permute register between threads
v_lshrrev_b32 v3, 4, v3                            // permute register between threads

/* rReg : reminder of M_size % GlobalLoadVectorWidth */
v_and_b32 v5, 15, v1                               // v5 = v1 % 16
v_cmp_eq_u32 vcc, v5, 0x1                          // wgMT%VW == 1
s_cbranch_vccnz label_0033                         // branch to shift d0 r=1
v_cmp_eq_u32 vcc, v5, 0x2                          // wgMT%VW == 2
s_cbranch_vccnz label_0042                         // branch to shift d0 r=2
v_cmp_eq_u32 vcc, v5, 0x3                          // wgMT%VW == 3
s_cbranch_vccnz label_0051                         // branch to shift d0 r=3
v_cmp_eq_u32 vcc, v5, 0x4                          // wgMT%VW == 4
s_cbranch_vccnz label_0060                         // branch to shift d0 r=4
v_cmp_eq_u32 vcc, v5, 0x5                          // wgMT%VW == 5
s_cbranch_vccnz label_0069                         // branch to shift d0 r=5
v_cmp_eq_u32 vcc, v5, 0x6                          // wgMT%VW == 6
s_cbranch_vccnz label_0078                         // branch to shift d0 r=6
v_cmp_eq_u32 vcc, v5, 0x7                          // wgMT%VW == 7
s_cbranch_vccnz label_0087                         // branch to shift d0 r=7
v_cmp_eq_u32 vcc, v5, 0x8                          // wgMT%VW == 8
s_cbranch_vccnz label_0096                         // branch to shift d0 r=8
v_cmp_eq_u32 vcc, v5, 0x9                          // wgMT%VW == 9
s_cbranch_vccnz label_0105                         // branch to shift d0 r=9
v_cmp_eq_u32 vcc, v5, 0xa                          // wgMT%VW == 10
s_cbranch_vccnz label_0114                         // branch to shift d0 r=10
v_cmp_eq_u32 vcc, v5, 0xb                          // wgMT%VW == 11
s_cbranch_vccnz label_0123                         // branch to shift d0 r=11
v_cmp_eq_u32 vcc, v5, 0xc                          // wgMT%VW == 12
s_cbranch_vccnz label_0132                         // branch to shift d0 r=12
v_cmp_eq_u32 vcc, v5, 0xd                          // wgMT%VW == 13
s_cbranch_vccnz label_0141                         // branch to shift d0 r=13
v_cmp_eq_u32 vcc, v5, 0xe                          // wgMT%VW == 14
s_cbranch_vccnz label_0150                         // branch to shift d0 r=14
v_cmp_eq_u32 vcc, v5, 0xf                          // wgMT%VW == 15
s_cbranch_vccnz label_0159                         // branch to shift d0 r=15
s_branch label_0168                                // no shifting

/******************************************/
/* shift d0 r=1                           */
/******************************************/
label_0033:
v_cmp_eq_u32 vcc, v2, 0x0                          // 
s_cbranch_vccnz label_0034                         // branch to shift d0 r1 mb0
v_cmp_eq_u32 vcc, v2, 0x1                          // 
s_cbranch_vccnz label_0036                         // branch to shift d0 r1 mb1
v_cmp_eq_u32 vcc, v2, 0x2                          // 
s_cbranch_vccnz label_0038                         // branch to shift d0 r1 mb2
v_cmp_eq_u32 vcc, v2, 0x3                          // 
s_cbranch_vccnz label_0040                         // branch to shift d0 r1 mb3

/******************************************/
/* shift d0 r=2                           */
/******************************************/
label_0042:
v_cmp_eq_u32 vcc, v2, 0x0                          // 
s_cbranch_vccnz label_0043                         // branch to shift d0 r2 mb0
v_cmp_eq_u32 vcc, v2, 0x1                          // 
s_cbranch_vccnz label_0045                         // branch to shift d0 r2 mb1
v_cmp_eq_u32 vcc, v2, 0x2                          // 
s_cbranch_vccnz label_0047                         // branch to shift d0 r2 mb2
v_cmp_eq_u32 vcc, v2, 0x3                          // 
s_cbranch_vccnz label_0049                         // branch to shift d0 r2 mb3

/******************************************/
/* shift d0 r=3                           */
/******************************************/
label_0051:
v_cmp_eq_u32 vcc, v2, 0x0                          // 
s_cbranch_vccnz label_0052                         // branch to shift d0 r3 mb0
v_cmp_eq_u32 vcc, v2, 0x1                          // 
s_cbranch_vccnz label_0054                         // branch to shift d0 r3 mb1
v_cmp_eq_u32 vcc, v2, 0x2                          // 
s_cbranch_vccnz label_0056                         // branch to shift d0 r3 mb2
v_cmp_eq_u32 vcc, v2, 0x3                          // 
s_cbranch_vccnz label_0058                         // branch to shift d0 r3 mb3

/******************************************/
/* shift d0 r=4                           */
/******************************************/
label_0060:
v_cmp_eq_u32 vcc, v2, 0x0                          // 
s_cbranch_vccnz label_0061                         // branch to shift d0 r4 mb0
v_cmp_eq_u32 vcc, v2, 0x1                          // 
s_cbranch_vccnz label_0063                         // branch to shift d0 r4 mb1
v_cmp_eq_u32 vcc, v2, 0x2                          // 
s_cbranch_vccnz label_0065                         // branch to shift d0 r4 mb2
v_cmp_eq_u32 vcc, v2, 0x3                          // 
s_cbranch_vccnz label_0067                         // branch to shift d0 r4 mb3

/******************************************/
/* shift d0 r=5                           */
/******************************************/
label_0069:
v_cmp_eq_u32 vcc, v2, 0x0                          // 
s_cbranch_vccnz label_0070                         // branch to shift d0 r5 mb0
v_cmp_eq_u32 vcc, v2, 0x1                          // 
s_cbranch_vccnz label_0072                         // branch to shift d0 r5 mb1
v_cmp_eq_u32 vcc, v2, 0x2                          // 
s_cbranch_vccnz label_0074                         // branch to shift d0 r5 mb2
v_cmp_eq_u32 vcc, v2, 0x3                          // 
s_cbranch_vccnz label_0076                         // branch to shift d0 r5 mb3

/******************************************/
/* shift d0 r=6                           */
/******************************************/
label_0078:
v_cmp_eq_u32 vcc, v2, 0x0                          // 
s_cbranch_vccnz label_0079                         // branch to shift d0 r6 mb0
v_cmp_eq_u32 vcc, v2, 0x1                          // 
s_cbranch_vccnz label_0081                         // branch to shift d0 r6 mb1
v_cmp_eq_u32 vcc, v2, 0x2                          // 
s_cbranch_vccnz label_0083                         // branch to shift d0 r6 mb2
v_cmp_eq_u32 vcc, v2, 0x3                          // 
s_cbranch_vccnz label_0085                         // branch to shift d0 r6 mb3

/******************************************/
/* shift d0 r=7                           */
/******************************************/
label_0087:
v_cmp_eq_u32 vcc, v2, 0x0                          // 
s_cbranch_vccnz label_0088                         // branch to shift d0 r7 mb0
v_cmp_eq_u32 vcc, v2, 0x1                          // 
s_cbranch_vccnz label_0090                         // branch to shift d0 r7 mb1
v_cmp_eq_u32 vcc, v2, 0x2                          // 
s_cbranch_vccnz label_0092                         // branch to shift d0 r7 mb2
v_cmp_eq_u32 vcc, v2, 0x3                          // 
s_cbranch_vccnz label_0094                         // branch to shift d0 r7 mb3

/******************************************/
/* shift d0 r=8                           */
/******************************************/
label_0096:
v_cmp_eq_u32 vcc, v2, 0x0                          // 
s_cbranch_vccnz label_0097                         // branch to shift d0 r8 mb0
v_cmp_eq_u32 vcc, v2, 0x1                          // 
s_cbranch_vccnz label_0099                         // branch to shift d0 r8 mb1
v_cmp_eq_u32 vcc, v2, 0x2                          // 
s_cbranch_vccnz label_0101                         // branch to shift d0 r8 mb2
v_cmp_eq_u32 vcc, v2, 0x3                          // 
s_cbranch_vccnz label_0103                         // branch to shift d0 r8 mb3

/******************************************/
/* shift d0 r=9                           */
/******************************************/
label_0105:
v_cmp_eq_u32 vcc, v2, 0x0                          // 
s_cbranch_vccnz label_0106                         // branch to shift d0 r9 mb0
v_cmp_eq_u32 vcc, v2, 0x1                          // 
s_cbranch_vccnz label_0108                         // branch to shift d0 r9 mb1
v_cmp_eq_u32 vcc, v2, 0x2                          // 
s_cbranch_vccnz label_0110                         // branch to shift d0 r9 mb2
v_cmp_eq_u32 vcc, v2, 0x3                          // 
s_cbranch_vccnz label_0112                         // branch to shift d0 r9 mb3

/******************************************/
/* shift d0 r=10                          */
/******************************************/
label_0114:
v_cmp_eq_u32 vcc, v2, 0x0                          // 
s_cbranch_vccnz label_0115                         // branch to shift d0 r10 mb0
v_cmp_eq_u32 vcc, v2, 0x1                          // 
s_cbranch_vccnz label_0117                         // branch to shift d0 r10 mb1
v_cmp_eq_u32 vcc, v2, 0x2                          // 
s_cbranch_vccnz label_0119                         // branch to shift d0 r10 mb2
v_cmp_eq_u32 vcc, v2, 0x3                          // 
s_cbranch_vccnz label_0121                         // branch to shift d0 r10 mb3

/******************************************/
/* shift d0 r=11                          */
/******************************************/
label_0123:
v_cmp_eq_u32 vcc, v2, 0x0                          // 
s_cbranch_vccnz label_0124                         // branch to shift d0 r11 mb0
v_cmp_eq_u32 vcc, v2, 0x1                          // 
s_cbranch_vccnz label_0126                         // branch to shift d0 r11 mb1
v_cmp_eq_u32 vcc, v2, 0x2                          // 
s_cbranch_vccnz label_0128                         // branch to shift d0 r11 mb2
v_cmp_eq_u32 vcc, v2, 0x3                          // 
s_cbranch_vccnz label_0130                         // branch to shift d0 r11 mb3

/******************************************/
/* shift d0 r=12                          */
/******************************************/
label_0132:
v_cmp_eq_u32 vcc, v2, 0x0                          // 
s_cbranch_vccnz label_0133                         // branch to shift d0 r12 mb0
v_cmp_eq_u32 vcc, v2, 0x1                          // 
s_cbranch_vccnz label_0135                         // branch to shift d0 r12 mb1
v_cmp_eq_u32 vcc, v2, 0x2                          // 
s_cbranch_vccnz label_0137                         // branch to shift d0 r12 mb2
v_cmp_eq_u32 vcc, v2, 0x3                          // 
s_cbranch_vccnz label_0139                         // branch to shift d0 r12 mb3

/******************************************/
/* shift d0 r=13                          */
/******************************************/
label_0141:
v_cmp_eq_u32 vcc, v2, 0x0                          // 
s_cbranch_vccnz label_0142                         // branch to shift d0 r13 mb0
v_cmp_eq_u32 vcc, v2, 0x1                          // 
s_cbranch_vccnz label_0144                         // branch to shift d0 r13 mb1
v_cmp_eq_u32 vcc, v2, 0x2                          // 
s_cbranch_vccnz label_0146                         // branch to shift d0 r13 mb2
v_cmp_eq_u32 vcc, v2, 0x3                          // 
s_cbranch_vccnz label_0148                         // branch to shift d0 r13 mb3

/******************************************/
/* shift d0 r=14                          */
/******************************************/
label_0150:
v_cmp_eq_u32 vcc, v2, 0x0                          // 
s_cbranch_vccnz label_0151                         // branch to shift d0 r14 mb0
v_cmp_eq_u32 vcc, v2, 0x1                          // 
s_cbranch_vccnz label_0153                         // branch to shift d0 r14 mb1
v_cmp_eq_u32 vcc, v2, 0x2                          // 
s_cbranch_vccnz label_0155                         // branch to shift d0 r14 mb2
v_cmp_eq_u32 vcc, v2, 0x3                          // 
s_cbranch_vccnz label_0157                         // branch to shift d0 r14 mb3

/******************************************/
/* shift d0 r=15                          */
/******************************************/
label_0159:
v_cmp_eq_u32 vcc, v2, 0x0                          // 
s_cbranch_vccnz label_0160                         // branch to shift d0 r15 mb0
v_cmp_eq_u32 vcc, v2, 0x1                          // 
s_cbranch_vccnz label_0162                         // branch to shift d0 r15 mb1
v_cmp_eq_u32 vcc, v2, 0x2                          // 
s_cbranch_vccnz label_0164                         // branch to shift d0 r15 mb2
v_cmp_eq_u32 vcc, v2, 0x3                          // 
s_cbranch_vccnz label_0166                         // branch to shift d0 r15 mb3

/******************************************/
/* shift d0 r=1 mb=0                      */
/******************************************/
label_0034: // r1 mb0 
v_cmp_eq_u32 vcc, v3, 0x0                          // 
s_cbranch_vccnz label_0035                         // branch to shift d0 r1 mb0 vw0

/******************************************/
/* shift d0 r=1 mb=1                      */
/******************************************/
label_0036: // r1 mb1 
v_cmp_eq_u32 vcc, v3, 0x0                          // 
s_cbranch_vccnz label_0037                         // branch to shift d0 r1 mb1 vw0

/******************************************/
/* shift d0 r=1 mb=2                      */
/******************************************/
label_0038: // r1 mb2 
v_cmp_eq_u32 vcc, v3, 0x0                          // 
s_cbranch_vccnz label_0039                         // branch to shift d0 r1 mb2 vw0

/******************************************/
/* shift d0 r=1 mb=3                      */
/******************************************/
label_0040: // r1 mb3 
v_cmp_eq_u32 vcc, v3, 0x0                          // 
s_cbranch_vccnz label_0041                         // branch to shift d0 r1 mb3 vw0

/******************************************/
/* shift d0 r=2 mb=0                      */
/******************************************/
label_0043: // r2 mb0 
v_cmp_eq_u32 vcc, v3, 0x0                          // 
s_cbranch_vccnz label_0044                         // branch to shift d0 r2 mb0 vw0

/******************************************/
/* shift d0 r=2 mb=1                      */
/******************************************/
label_0045: // r2 mb1 
v_cmp_eq_u32 vcc, v3, 0x0                          // 
s_cbranch_vccnz label_0046                         // branch to shift d0 r2 mb1 vw0

/******************************************/
/* shift d0 r=2 mb=2                      */
/******************************************/
label_0047: // r2 mb2 
v_cmp_eq_u32 vcc, v3, 0x0                          // 
s_cbranch_vccnz label_0048                         // branch to shift d0 r2 mb2 vw0

/******************************************/
/* shift d0 r=2 mb=3                      */
/******************************************/
label_0049: // r2 mb3 
v_cmp_eq_u32 vcc, v3, 0x0                          // 
s_cbranch_vccnz label_0050                         // branch to shift d0 r2 mb3 vw0

/******************************************/
/* shift d0 r=3 mb=0                      */
/******************************************/
label_0052: // r3 mb0 
v_cmp_eq_u32 vcc, v3, 0x0                          // 
s_cbranch_vccnz label_0053                         // branch to shift d0 r3 mb0 vw0

/******************************************/
/* shift d0 r=3 mb=1                      */
/******************************************/
label_0054: // r3 mb1 
v_cmp_eq_u32 vcc, v3, 0x0                          // 
s_cbranch_vccnz label_0055                         // branch to shift d0 r3 mb1 vw0

/******************************************/
/* shift d0 r=3 mb=2                      */
/******************************************/
label_0056: // r3 mb2 
v_cmp_eq_u32 vcc, v3, 0x0                          // 
s_cbranch_vccnz label_0057                         // branch to shift d0 r3 mb2 vw0

/******************************************/
/* shift d0 r=3 mb=3                      */
/******************************************/
label_0058: // r3 mb3 
v_cmp_eq_u32 vcc, v3, 0x0                          // 
s_cbranch_vccnz label_0059                         // branch to shift d0 r3 mb3 vw0

/******************************************/
/* shift d0 r=4 mb=0                      */
/******************************************/
label_0061: // r4 mb0 
v_cmp_eq_u32 vcc, v3, 0x0                          // 
s_cbranch_vccnz label_0062                         // branch to shift d0 r4 mb0 vw0

/******************************************/
/* shift d0 r=4 mb=1                      */
/******************************************/
label_0063: // r4 mb1 
v_cmp_eq_u32 vcc, v3, 0x0                          // 
s_cbranch_vccnz label_0064                         // branch to shift d0 r4 mb1 vw0

/******************************************/
/* shift d0 r=4 mb=2                      */
/******************************************/
label_0065: // r4 mb2 
v_cmp_eq_u32 vcc, v3, 0x0                          // 
s_cbranch_vccnz label_0066                         // branch to shift d0 r4 mb2 vw0

/******************************************/
/* shift d0 r=4 mb=3                      */
/******************************************/
label_0067: // r4 mb3 
v_cmp_eq_u32 vcc, v3, 0x0                          // 
s_cbranch_vccnz label_0068                         // branch to shift d0 r4 mb3 vw0

/******************************************/
/* shift d0 r=5 mb=0                      */
/******************************************/
label_0070: // r5 mb0 
v_cmp_eq_u32 vcc, v3, 0x0                          // 
s_cbranch_vccnz label_0071                         // branch to shift d0 r5 mb0 vw0

/******************************************/
/* shift d0 r=5 mb=1                      */
/******************************************/
label_0072: // r5 mb1 
v_cmp_eq_u32 vcc, v3, 0x0                          // 
s_cbranch_vccnz label_0073                         // branch to shift d0 r5 mb1 vw0

/******************************************/
/* shift d0 r=5 mb=2                      */
/******************************************/
label_0074: // r5 mb2 
v_cmp_eq_u32 vcc, v3, 0x0                          // 
s_cbranch_vccnz label_0075                         // branch to shift d0 r5 mb2 vw0

/******************************************/
/* shift d0 r=5 mb=3                      */
/******************************************/
label_0076: // r5 mb3 
v_cmp_eq_u32 vcc, v3, 0x0                          // 
s_cbranch_vccnz label_0077                         // branch to shift d0 r5 mb3 vw0

/******************************************/
/* shift d0 r=6 mb=0                      */
/******************************************/
label_0079: // r6 mb0 
v_cmp_eq_u32 vcc, v3, 0x0                          // 
s_cbranch_vccnz label_0080                         // branch to shift d0 r6 mb0 vw0

/******************************************/
/* shift d0 r=6 mb=1                      */
/******************************************/
label_0081: // r6 mb1 
v_cmp_eq_u32 vcc, v3, 0x0                          // 
s_cbranch_vccnz label_0082                         // branch to shift d0 r6 mb1 vw0

/******************************************/
/* shift d0 r=6 mb=2                      */
/******************************************/
label_0083: // r6 mb2 
v_cmp_eq_u32 vcc, v3, 0x0                          // 
s_cbranch_vccnz label_0084                         // branch to shift d0 r6 mb2 vw0

/******************************************/
/* shift d0 r=6 mb=3                      */
/******************************************/
label_0085: // r6 mb3 
v_cmp_eq_u32 vcc, v3, 0x0                          // 
s_cbranch_vccnz label_0086                         // branch to shift d0 r6 mb3 vw0

/******************************************/
/* shift d0 r=7 mb=0                      */
/******************************************/
label_0088: // r7 mb0 
v_cmp_eq_u32 vcc, v3, 0x0                          // 
s_cbranch_vccnz label_0089                         // branch to shift d0 r7 mb0 vw0

/******************************************/
/* shift d0 r=7 mb=1                      */
/******************************************/
label_0090: // r7 mb1 
v_cmp_eq_u32 vcc, v3, 0x0                          // 
s_cbranch_vccnz label_0091                         // branch to shift d0 r7 mb1 vw0

/******************************************/
/* shift d0 r=7 mb=2                      */
/******************************************/
label_0092: // r7 mb2 
v_cmp_eq_u32 vcc, v3, 0x0                          // 
s_cbranch_vccnz label_0093                         // branch to shift d0 r7 mb2 vw0

/******************************************/
/* shift d0 r=7 mb=3                      */
/******************************************/
label_0094: // r7 mb3 
v_cmp_eq_u32 vcc, v3, 0x0                          // 
s_cbranch_vccnz label_0095                         // branch to shift d0 r7 mb3 vw0

/******************************************/
/* shift d0 r=8 mb=0                      */
/******************************************/
label_0097: // r8 mb0 
v_cmp_eq_u32 vcc, v3, 0x0                          // 
s_cbranch_vccnz label_0098                         // branch to shift d0 r8 mb0 vw0

/******************************************/
/* shift d0 r=8 mb=1                      */
/******************************************/
label_0099: // r8 mb1 
v_cmp_eq_u32 vcc, v3, 0x0                          // 
s_cbranch_vccnz label_0100                         // branch to shift d0 r8 mb1 vw0

/******************************************/
/* shift d0 r=8 mb=2                      */
/******************************************/
label_0101: // r8 mb2 
v_cmp_eq_u32 vcc, v3, 0x0                          // 
s_cbranch_vccnz label_0102                         // branch to shift d0 r8 mb2 vw0

/******************************************/
/* shift d0 r=8 mb=3                      */
/******************************************/
label_0103: // r8 mb3 
v_cmp_eq_u32 vcc, v3, 0x0                          // 
s_cbranch_vccnz label_0104                         // branch to shift d0 r8 mb3 vw0

/******************************************/
/* shift d0 r=9 mb=0                      */
/******************************************/
label_0106: // r9 mb0 
v_cmp_eq_u32 vcc, v3, 0x0                          // 
s_cbranch_vccnz label_0107                         // branch to shift d0 r9 mb0 vw0

/******************************************/
/* shift d0 r=9 mb=1                      */
/******************************************/
label_0108: // r9 mb1 
v_cmp_eq_u32 vcc, v3, 0x0                          // 
s_cbranch_vccnz label_0109                         // branch to shift d0 r9 mb1 vw0

/******************************************/
/* shift d0 r=9 mb=2                      */
/******************************************/
label_0110: // r9 mb2 
v_cmp_eq_u32 vcc, v3, 0x0                          // 
s_cbranch_vccnz label_0111                         // branch to shift d0 r9 mb2 vw0

/******************************************/
/* shift d0 r=9 mb=3                      */
/******************************************/
label_0112: // r9 mb3 
v_cmp_eq_u32 vcc, v3, 0x0                          // 
s_cbranch_vccnz label_0113                         // branch to shift d0 r9 mb3 vw0

/******************************************/
/* shift d0 r=10 mb=0                     */
/******************************************/
label_0115: // r10 mb0 
v_cmp_eq_u32 vcc, v3, 0x0                          // 
s_cbranch_vccnz label_0116                         // branch to shift d0 r10 mb0 vw0

/******************************************/
/* shift d0 r=10 mb=1                     */
/******************************************/
label_0117: // r10 mb1 
v_cmp_eq_u32 vcc, v3, 0x0                          // 
s_cbranch_vccnz label_0118                         // branch to shift d0 r10 mb1 vw0

/******************************************/
/* shift d0 r=10 mb=2                     */
/******************************************/
label_0119: // r10 mb2 
v_cmp_eq_u32 vcc, v3, 0x0                          // 
s_cbranch_vccnz label_0120                         // branch to shift d0 r10 mb2 vw0

/******************************************/
/* shift d0 r=10 mb=3                     */
/******************************************/
label_0121: // r10 mb3 
v_cmp_eq_u32 vcc, v3, 0x0                          // 
s_cbranch_vccnz label_0122                         // branch to shift d0 r10 mb3 vw0

/******************************************/
/* shift d0 r=11 mb=0                     */
/******************************************/
label_0124: // r11 mb0 
v_cmp_eq_u32 vcc, v3, 0x0                          // 
s_cbranch_vccnz label_0125                         // branch to shift d0 r11 mb0 vw0

/******************************************/
/* shift d0 r=11 mb=1                     */
/******************************************/
label_0126: // r11 mb1 
v_cmp_eq_u32 vcc, v3, 0x0                          // 
s_cbranch_vccnz label_0127                         // branch to shift d0 r11 mb1 vw0

/******************************************/
/* shift d0 r=11 mb=2                     */
/******************************************/
label_0128: // r11 mb2 
v_cmp_eq_u32 vcc, v3, 0x0                          // 
s_cbranch_vccnz label_0129                         // branch to shift d0 r11 mb2 vw0

/******************************************/
/* shift d0 r=11 mb=3                     */
/******************************************/
label_0130: // r11 mb3 
v_cmp_eq_u32 vcc, v3, 0x0                          // 
s_cbranch_vccnz label_0131                         // branch to shift d0 r11 mb3 vw0

/******************************************/
/* shift d0 r=12 mb=0                     */
/******************************************/
label_0133: // r12 mb0 
v_cmp_eq_u32 vcc, v3, 0x0                          // 
s_cbranch_vccnz label_0134                         // branch to shift d0 r12 mb0 vw0

/******************************************/
/* shift d0 r=12 mb=1                     */
/******************************************/
label_0135: // r12 mb1 
v_cmp_eq_u32 vcc, v3, 0x0                          // 
s_cbranch_vccnz label_0136                         // branch to shift d0 r12 mb1 vw0

/******************************************/
/* shift d0 r=12 mb=2                     */
/******************************************/
label_0137: // r12 mb2 
v_cmp_eq_u32 vcc, v3, 0x0                          // 
s_cbranch_vccnz label_0138                         // branch to shift d0 r12 mb2 vw0

/******************************************/
/* shift d0 r=12 mb=3                     */
/******************************************/
label_0139: // r12 mb3 
v_cmp_eq_u32 vcc, v3, 0x0                          // 
s_cbranch_vccnz label_0140                         // branch to shift d0 r12 mb3 vw0

/******************************************/
/* shift d0 r=13 mb=0                     */
/******************************************/
label_0142: // r13 mb0 
v_cmp_eq_u32 vcc, v3, 0x0                          // 
s_cbranch_vccnz label_0143                         // branch to shift d0 r13 mb0 vw0

/******************************************/
/* shift d0 r=13 mb=1                     */
/******************************************/
label_0144: // r13 mb1 
v_cmp_eq_u32 vcc, v3, 0x0                          // 
s_cbranch_vccnz label_0145                         // branch to shift d0 r13 mb1 vw0

/******************************************/
/* shift d0 r=13 mb=2                     */
/******************************************/
label_0146: // r13 mb2 
v_cmp_eq_u32 vcc, v3, 0x0                          // 
s_cbranch_vccnz label_0147                         // branch to shift d0 r13 mb2 vw0

/******************************************/
/* shift d0 r=13 mb=3                     */
/******************************************/
label_0148: // r13 mb3 
v_cmp_eq_u32 vcc, v3, 0x0                          // 
s_cbranch_vccnz label_0149                         // branch to shift d0 r13 mb3 vw0

/******************************************/
/* shift d0 r=14 mb=0                     */
/******************************************/
label_0151: // r14 mb0 
v_cmp_eq_u32 vcc, v3, 0x0                          // 
s_cbranch_vccnz label_0152                         // branch to shift d0 r14 mb0 vw0

/******************************************/
/* shift d0 r=14 mb=1                     */
/******************************************/
label_0153: // r14 mb1 
v_cmp_eq_u32 vcc, v3, 0x0                          // 
s_cbranch_vccnz label_0154                         // branch to shift d0 r14 mb1 vw0

/******************************************/
/* shift d0 r=14 mb=2                     */
/******************************************/
label_0155: // r14 mb2 
v_cmp_eq_u32 vcc, v3, 0x0                          // 
s_cbranch_vccnz label_0156                         // branch to shift d0 r14 mb2 vw0

/******************************************/
/* shift d0 r=14 mb=3                     */
/******************************************/
label_0157: // r14 mb3 
v_cmp_eq_u32 vcc, v3, 0x0                          // 
s_cbranch_vccnz label_0158                         // branch to shift d0 r14 mb3 vw0

/******************************************/
/* shift d0 r=15 mb=0                     */
/******************************************/
label_0160: // r15 mb0 
v_cmp_eq_u32 vcc, v3, 0x0                          // 
s_cbranch_vccnz label_0161                         // branch to shift d0 r15 mb0 vw0

/******************************************/
/* shift d0 r=15 mb=1                     */
/******************************************/
label_0162: // r15 mb1 
v_cmp_eq_u32 vcc, v3, 0x0                          // 
s_cbranch_vccnz label_0163                         // branch to shift d0 r15 mb1 vw0

/******************************************/
/* shift d0 r=15 mb=2                     */
/******************************************/
label_0164: // r15 mb2 
v_cmp_eq_u32 vcc, v3, 0x0                          // 
s_cbranch_vccnz label_0165                         // branch to shift d0 r15 mb2 vw0

/******************************************/
/* shift d0 r=15 mb=3                     */
/******************************************/
label_0166: // r15 mb3 
v_cmp_eq_u32 vcc, v3, 0x0                          // 
s_cbranch_vccnz label_0167                         // branch to shift d0 r15 mb3 vw0

/******************************************/
/* shift d0 r=1 mb=0 vw0                  */
/******************************************/
label_0035: // r1 mb0 vw0 
s_mov_b32 s42, 0                                   // 
_v_cmpx_eq_u32 s[42:43], v4, s42                   // is thread in edge glvw region
v_and_b32 v0, 63, v[vgprSerial]                    // permute register between threads
v_lshlrev_b32 v0, 2, v0                            // permute register between threads
v_accvgpr_read_b32 v5, acc51                       // glvw 1 mb 0 tt1 0 r 0
s_nop 1                                            // v_accvgpr read vgpr after write vgpr: 2 wait states
v_accvgpr_write_b32 acc0, v5                       // 
v_accvgpr_read_b32 v5, acc115                      // glvw 1 mb 0 tt1 1 r 0
s_nop 1                                            // v_accvgpr read vgpr after write vgpr: 2 wait states
v_accvgpr_write_b32 acc64, v5                      // 
v_accvgpr_read_b32 v5, acc179                      // glvw 1 mb 0 tt1 2 r 0
s_nop 1                                            // v_accvgpr read vgpr after write vgpr: 2 wait states
v_accvgpr_write_b32 acc128, v5                     // 
v_accvgpr_read_b32 v5, acc243                      // glvw 1 mb 0 tt1 3 r 0
s_nop 1                                            // v_accvgpr read vgpr after write vgpr: 2 wait states
v_accvgpr_write_b32 acc192, v5                     // 
s_mov_b64 s[42:43], 0xFFFFFFFFFFFFFFFF             // to restore all threads active
s_or_saveexec_b64 vcc, s[42:43]                    // all threads active
s_branch label_0168                                // done shifting


/******************************************/
/* shift d0 r=1 mb=1 vw0                  */
/******************************************/
label_0037: // r1 mb1 vw0 
s_mov_b32 s42, 2                                   // 
_v_cmpx_eq_u32 s[42:43], v4, s42                   // is thread in edge glvw region
v_and_b32 v0, 63, v[vgprSerial]                    // permute register between threads
v_lshlrev_b32 v0, 2, v0                            // permute register between threads
v_accvgpr_read_b32 v5, acc55                       // glvw 1 mb 1 tt1 0 r 0
s_nop 1                                            // v_accvgpr read vgpr after write vgpr: 2 wait states
v_accvgpr_write_b32 acc4, v5                       // 
v_accvgpr_read_b32 v5, acc119                      // glvw 1 mb 1 tt1 1 r 0
s_nop 1                                            // v_accvgpr read vgpr after write vgpr: 2 wait states
v_accvgpr_write_b32 acc68, v5                      // 
v_accvgpr_read_b32 v5, acc183                      // glvw 1 mb 1 tt1 2 r 0
s_nop 1                                            // v_accvgpr read vgpr after write vgpr: 2 wait states
v_accvgpr_write_b32 acc132, v5                     // 
v_accvgpr_read_b32 v5, acc247                      // glvw 1 mb 1 tt1 3 r 0
s_nop 1                                            // v_accvgpr read vgpr after write vgpr: 2 wait states
v_accvgpr_write_b32 acc196, v5                     // 
s_mov_b64 s[42:43], 0xFFFFFFFFFFFFFFFF             // to restore all threads active
s_or_saveexec_b64 vcc, s[42:43]                    // all threads active
s_branch label_0168                                // done shifting


/******************************************/
/* shift d0 r=1 mb=2 vw0                  */
/******************************************/
label_0039: // r1 mb2 vw0 
s_mov_b32 s42, 4                                   // 
_v_cmpx_eq_u32 s[42:43], v4, s42                   // is thread in edge glvw region
v_and_b32 v0, 63, v[vgprSerial]                    // permute register between threads
v_lshlrev_b32 v0, 2, v0                            // permute register between threads
v_accvgpr_read_b32 v5, acc59                       // glvw 1 mb 2 tt1 0 r 0
s_nop 1                                            // v_accvgpr read vgpr after write vgpr: 2 wait states
v_accvgpr_write_b32 acc8, v5                       // 
v_accvgpr_read_b32 v5, acc123                      // glvw 1 mb 2 tt1 1 r 0
s_nop 1                                            // v_accvgpr read vgpr after write vgpr: 2 wait states
v_accvgpr_write_b32 acc72, v5                      // 
v_accvgpr_read_b32 v5, acc187                      // glvw 1 mb 2 tt1 2 r 0
s_nop 1                                            // v_accvgpr read vgpr after write vgpr: 2 wait states
v_accvgpr_write_b32 acc136, v5                     // 
v_accvgpr_read_b32 v5, acc251                      // glvw 1 mb 2 tt1 3 r 0
s_nop 1                                            // v_accvgpr read vgpr after write vgpr: 2 wait states
v_accvgpr_write_b32 acc200, v5                     // 
s_mov_b64 s[42:43], 0xFFFFFFFFFFFFFFFF             // to restore all threads active
s_or_saveexec_b64 vcc, s[42:43]                    // all threads active
s_branch label_0168                                // done shifting


/******************************************/
/* shift d0 r=1 mb=3 vw0                  */
/******************************************/
label_0041: // r1 mb3 vw0 
s_mov_b32 s42, 6                                   // 
_v_cmpx_eq_u32 s[42:43], v4, s42                   // is thread in edge glvw region
v_and_b32 v0, 63, v[vgprSerial]                    // permute register between threads
v_lshlrev_b32 v0, 2, v0                            // permute register between threads
v_accvgpr_read_b32 v5, acc63                       // glvw 1 mb 3 tt1 0 r 0
s_nop 1                                            // v_accvgpr read vgpr after write vgpr: 2 wait states
v_accvgpr_write_b32 acc12, v5                      // 
v_accvgpr_read_b32 v5, acc127                      // glvw 1 mb 3 tt1 1 r 0
s_nop 1                                            // v_accvgpr read vgpr after write vgpr: 2 wait states
v_accvgpr_write_b32 acc76, v5                      // 
v_accvgpr_read_b32 v5, acc191                      // glvw 1 mb 3 tt1 2 r 0
s_nop 1                                            // v_accvgpr read vgpr after write vgpr: 2 wait states
v_accvgpr_write_b32 acc140, v5                     // 
v_accvgpr_read_b32 v5, acc255                      // glvw 1 mb 3 tt1 3 r 0
s_nop 1                                            // v_accvgpr read vgpr after write vgpr: 2 wait states
v_accvgpr_write_b32 acc204, v5                     // 
s_mov_b64 s[42:43], 0xFFFFFFFFFFFFFFFF             // to restore all threads active
s_or_saveexec_b64 vcc, s[42:43]                    // all threads active
s_branch label_0168                                // done shifting


/******************************************/
/* shift d0 r=2 mb=0 vw0                  */
/******************************************/
label_0044: // r2 mb0 vw0 
s_mov_b32 s42, 0                                   // 
_v_cmpx_eq_u32 s[42:43], v4, s42                   // is thread in edge glvw region
v_and_b32 v0, 63, v[vgprSerial]                    // permute register between threads
v_lshlrev_b32 v0, 2, v0                            // permute register between threads
v_accvgpr_read_b32 v5, acc35                       // glvw 2 mb 0 tt1 0 r 0
v_accvgpr_read_b32 v6, acc51                       // glvw 2 mb 0 tt1 0 r 0
s_nop 1                                            // v_accvgpr read vgpr after write vgpr: 2 wait states
v_accvgpr_write_b32 acc0, v5                       // 
v_accvgpr_write_b32 acc16, v6                      // 
v_accvgpr_read_b32 v5, acc99                       // glvw 2 mb 0 tt1 1 r 0
v_accvgpr_read_b32 v6, acc115                      // glvw 2 mb 0 tt1 1 r 0
s_nop 1                                            // v_accvgpr read vgpr after write vgpr: 2 wait states
v_accvgpr_write_b32 acc64, v5                      // 
v_accvgpr_write_b32 acc80, v6                      // 
v_accvgpr_read_b32 v5, acc163                      // glvw 2 mb 0 tt1 2 r 0
v_accvgpr_read_b32 v6, acc179                      // glvw 2 mb 0 tt1 2 r 0
s_nop 1                                            // v_accvgpr read vgpr after write vgpr: 2 wait states
v_accvgpr_write_b32 acc128, v5                     // 
v_accvgpr_write_b32 acc144, v6                     // 
v_accvgpr_read_b32 v5, acc227                      // glvw 2 mb 0 tt1 3 r 0
v_accvgpr_read_b32 v6, acc243                      // glvw 2 mb 0 tt1 3 r 0
s_nop 1                                            // v_accvgpr read vgpr after write vgpr: 2 wait states
v_accvgpr_write_b32 acc192, v5                     // 
v_accvgpr_write_b32 acc208, v6                     // 
s_mov_b64 s[42:43], 0xFFFFFFFFFFFFFFFF             // to restore all threads active
s_or_saveexec_b64 vcc, s[42:43]                    // all threads active
s_branch label_0168                                // done shifting


/******************************************/
/* shift d0 r=2 mb=1 vw0                  */
/******************************************/
label_0046: // r2 mb1 vw0 
s_mov_b32 s42, 2                                   // 
_v_cmpx_eq_u32 s[42:43], v4, s42                   // is thread in edge glvw region
v_and_b32 v0, 63, v[vgprSerial]                    // permute register between threads
v_lshlrev_b32 v0, 2, v0                            // permute register between threads
v_accvgpr_read_b32 v5, acc39                       // glvw 2 mb 1 tt1 0 r 0
v_accvgpr_read_b32 v6, acc55                       // glvw 2 mb 1 tt1 0 r 0
s_nop 1                                            // v_accvgpr read vgpr after write vgpr: 2 wait states
v_accvgpr_write_b32 acc4, v5                       // 
v_accvgpr_write_b32 acc20, v6                      // 
v_accvgpr_read_b32 v5, acc103                      // glvw 2 mb 1 tt1 1 r 0
v_accvgpr_read_b32 v6, acc119                      // glvw 2 mb 1 tt1 1 r 0
s_nop 1                                            // v_accvgpr read vgpr after write vgpr: 2 wait states
v_accvgpr_write_b32 acc68, v5                      // 
v_accvgpr_write_b32 acc84, v6                      // 
v_accvgpr_read_b32 v5, acc167                      // glvw 2 mb 1 tt1 2 r 0
v_accvgpr_read_b32 v6, acc183                      // glvw 2 mb 1 tt1 2 r 0
s_nop 1                                            // v_accvgpr read vgpr after write vgpr: 2 wait states
v_accvgpr_write_b32 acc132, v5                     // 
v_accvgpr_write_b32 acc148, v6                     // 
v_accvgpr_read_b32 v5, acc231                      // glvw 2 mb 1 tt1 3 r 0
v_accvgpr_read_b32 v6, acc247                      // glvw 2 mb 1 tt1 3 r 0
s_nop 1                                            // v_accvgpr read vgpr after write vgpr: 2 wait states
v_accvgpr_write_b32 acc196, v5                     // 
v_accvgpr_write_b32 acc212, v6                     // 
s_mov_b64 s[42:43], 0xFFFFFFFFFFFFFFFF             // to restore all threads active
s_or_saveexec_b64 vcc, s[42:43]                    // all threads active
s_branch label_0168                                // done shifting


/******************************************/
/* shift d0 r=2 mb=2 vw0                  */
/******************************************/
label_0048: // r2 mb2 vw0 
s_mov_b32 s42, 4                                   // 
_v_cmpx_eq_u32 s[42:43], v4, s42                   // is thread in edge glvw region
v_and_b32 v0, 63, v[vgprSerial]                    // permute register between threads
v_lshlrev_b32 v0, 2, v0                            // permute register between threads
v_accvgpr_read_b32 v5, acc43                       // glvw 2 mb 2 tt1 0 r 0
v_accvgpr_read_b32 v6, acc59                       // glvw 2 mb 2 tt1 0 r 0
s_nop 1                                            // v_accvgpr read vgpr after write vgpr: 2 wait states
v_accvgpr_write_b32 acc8, v5                       // 
v_accvgpr_write_b32 acc24, v6                      // 
v_accvgpr_read_b32 v5, acc107                      // glvw 2 mb 2 tt1 1 r 0
v_accvgpr_read_b32 v6, acc123                      // glvw 2 mb 2 tt1 1 r 0
s_nop 1                                            // v_accvgpr read vgpr after write vgpr: 2 wait states
v_accvgpr_write_b32 acc72, v5                      // 
v_accvgpr_write_b32 acc88, v6                      // 
v_accvgpr_read_b32 v5, acc171                      // glvw 2 mb 2 tt1 2 r 0
v_accvgpr_read_b32 v6, acc187                      // glvw 2 mb 2 tt1 2 r 0
s_nop 1                                            // v_accvgpr read vgpr after write vgpr: 2 wait states
v_accvgpr_write_b32 acc136, v5                     // 
v_accvgpr_write_b32 acc152, v6                     // 
v_accvgpr_read_b32 v5, acc235                      // glvw 2 mb 2 tt1 3 r 0
v_accvgpr_read_b32 v6, acc251                      // glvw 2 mb 2 tt1 3 r 0
s_nop 1                                            // v_accvgpr read vgpr after write vgpr: 2 wait states
v_accvgpr_write_b32 acc200, v5                     // 
v_accvgpr_write_b32 acc216, v6                     // 
s_mov_b64 s[42:43], 0xFFFFFFFFFFFFFFFF             // to restore all threads active
s_or_saveexec_b64 vcc, s[42:43]                    // all threads active
s_branch label_0168                                // done shifting


/******************************************/
/* shift d0 r=2 mb=3 vw0                  */
/******************************************/
label_0050: // r2 mb3 vw0 
s_mov_b32 s42, 6                                   // 
_v_cmpx_eq_u32 s[42:43], v4, s42                   // is thread in edge glvw region
v_and_b32 v0, 63, v[vgprSerial]                    // permute register between threads
v_lshlrev_b32 v0, 2, v0                            // permute register between threads
v_accvgpr_read_b32 v5, acc47                       // glvw 2 mb 3 tt1 0 r 0
v_accvgpr_read_b32 v6, acc63                       // glvw 2 mb 3 tt1 0 r 0
s_nop 1                                            // v_accvgpr read vgpr after write vgpr: 2 wait states
v_accvgpr_write_b32 acc12, v5                      // 
v_accvgpr_write_b32 acc28, v6                      // 
v_accvgpr_read_b32 v5, acc111                      // glvw 2 mb 3 tt1 1 r 0
v_accvgpr_read_b32 v6, acc127                      // glvw 2 mb 3 tt1 1 r 0
s_nop 1                                            // v_accvgpr read vgpr after write vgpr: 2 wait states
v_accvgpr_write_b32 acc76, v5                      // 
v_accvgpr_write_b32 acc92, v6                      // 
v_accvgpr_read_b32 v5, acc175                      // glvw 2 mb 3 tt1 2 r 0
v_accvgpr_read_b32 v6, acc191                      // glvw 2 mb 3 tt1 2 r 0
s_nop 1                                            // v_accvgpr read vgpr after write vgpr: 2 wait states
v_accvgpr_write_b32 acc140, v5                     // 
v_accvgpr_write_b32 acc156, v6                     // 
v_accvgpr_read_b32 v5, acc239                      // glvw 2 mb 3 tt1 3 r 0
v_accvgpr_read_b32 v6, acc255                      // glvw 2 mb 3 tt1 3 r 0
s_nop 1                                            // v_accvgpr read vgpr after write vgpr: 2 wait states
v_accvgpr_write_b32 acc204, v5                     // 
v_accvgpr_write_b32 acc220, v6                     // 
s_mov_b64 s[42:43], 0xFFFFFFFFFFFFFFFF             // to restore all threads active
s_or_saveexec_b64 vcc, s[42:43]                    // all threads active
s_branch label_0168                                // done shifting


/******************************************/
/* shift d0 r=3 mb=0 vw0                  */
/******************************************/
label_0053: // r3 mb0 vw0 
s_mov_b32 s42, 0                                   // 
_v_cmpx_eq_u32 s[42:43], v4, s42                   // is thread in edge glvw region
v_and_b32 v0, 63, v[vgprSerial]                    // permute register between threads
v_lshlrev_b32 v0, 2, v0                            // permute register between threads
v_accvgpr_read_b32 v5, acc19                       // glvw 3 mb 0 tt1 0 r 0
v_accvgpr_read_b32 v6, acc35                       // glvw 3 mb 0 tt1 0 r 0
v_accvgpr_read_b32 v7, acc51                       // glvw 3 mb 0 tt1 0 r 0
s_nop 1                                            // v_accvgpr read vgpr after write vgpr: 2 wait states
v_accvgpr_write_b32 acc0, v5                       // 
v_accvgpr_write_b32 acc16, v6                      // 
v_accvgpr_write_b32 acc32, v7                      // 
v_accvgpr_read_b32 v5, acc83                       // glvw 3 mb 0 tt1 1 r 0
v_accvgpr_read_b32 v6, acc99                       // glvw 3 mb 0 tt1 1 r 0
v_accvgpr_read_b32 v7, acc115                      // glvw 3 mb 0 tt1 1 r 0
s_nop 1                                            // v_accvgpr read vgpr after write vgpr: 2 wait states
v_accvgpr_write_b32 acc64, v5                      // 
v_accvgpr_write_b32 acc80, v6                      // 
v_accvgpr_write_b32 acc96, v7                      // 
v_accvgpr_read_b32 v5, acc147                      // glvw 3 mb 0 tt1 2 r 0
v_accvgpr_read_b32 v6, acc163                      // glvw 3 mb 0 tt1 2 r 0
v_accvgpr_read_b32 v7, acc179                      // glvw 3 mb 0 tt1 2 r 0
s_nop 1                                            // v_accvgpr read vgpr after write vgpr: 2 wait states
v_accvgpr_write_b32 acc128, v5                     // 
v_accvgpr_write_b32 acc144, v6                     // 
v_accvgpr_write_b32 acc160, v7                     // 
v_accvgpr_read_b32 v5, acc211                      // glvw 3 mb 0 tt1 3 r 0
v_accvgpr_read_b32 v6, acc227                      // glvw 3 mb 0 tt1 3 r 0
v_accvgpr_read_b32 v7, acc243                      // glvw 3 mb 0 tt1 3 r 0
s_nop 1                                            // v_accvgpr read vgpr after write vgpr: 2 wait states
v_accvgpr_write_b32 acc192, v5                     // 
v_accvgpr_write_b32 acc208, v6                     // 
v_accvgpr_write_b32 acc224, v7                     // 
s_mov_b64 s[42:43], 0xFFFFFFFFFFFFFFFF             // to restore all threads active
s_or_saveexec_b64 vcc, s[42:43]                    // all threads active
s_branch label_0168                                // done shifting


/******************************************/
/* shift d0 r=3 mb=1 vw0                  */
/******************************************/
label_0055: // r3 mb1 vw0 
s_mov_b32 s42, 2                                   // 
_v_cmpx_eq_u32 s[42:43], v4, s42                   // is thread in edge glvw region
v_and_b32 v0, 63, v[vgprSerial]                    // permute register between threads
v_lshlrev_b32 v0, 2, v0                            // permute register between threads
v_accvgpr_read_b32 v5, acc23                       // glvw 3 mb 1 tt1 0 r 0
v_accvgpr_read_b32 v6, acc39                       // glvw 3 mb 1 tt1 0 r 0
v_accvgpr_read_b32 v7, acc55                       // glvw 3 mb 1 tt1 0 r 0
s_nop 1                                            // v_accvgpr read vgpr after write vgpr: 2 wait states
v_accvgpr_write_b32 acc4, v5                       // 
v_accvgpr_write_b32 acc20, v6                      // 
v_accvgpr_write_b32 acc36, v7                      // 
v_accvgpr_read_b32 v5, acc87                       // glvw 3 mb 1 tt1 1 r 0
v_accvgpr_read_b32 v6, acc103                      // glvw 3 mb 1 tt1 1 r 0
v_accvgpr_read_b32 v7, acc119                      // glvw 3 mb 1 tt1 1 r 0
s_nop 1                                            // v_accvgpr read vgpr after write vgpr: 2 wait states
v_accvgpr_write_b32 acc68, v5                      // 
v_accvgpr_write_b32 acc84, v6                      // 
v_accvgpr_write_b32 acc100, v7                     // 
v_accvgpr_read_b32 v5, acc151                      // glvw 3 mb 1 tt1 2 r 0
v_accvgpr_read_b32 v6, acc167                      // glvw 3 mb 1 tt1 2 r 0
v_accvgpr_read_b32 v7, acc183                      // glvw 3 mb 1 tt1 2 r 0
s_nop 1                                            // v_accvgpr read vgpr after write vgpr: 2 wait states
v_accvgpr_write_b32 acc132, v5                     // 
v_accvgpr_write_b32 acc148, v6                     // 
v_accvgpr_write_b32 acc164, v7                     // 
v_accvgpr_read_b32 v5, acc215                      // glvw 3 mb 1 tt1 3 r 0
v_accvgpr_read_b32 v6, acc231                      // glvw 3 mb 1 tt1 3 r 0
v_accvgpr_read_b32 v7, acc247                      // glvw 3 mb 1 tt1 3 r 0
s_nop 1                                            // v_accvgpr read vgpr after write vgpr: 2 wait states
v_accvgpr_write_b32 acc196, v5                     // 
v_accvgpr_write_b32 acc212, v6                     // 
v_accvgpr_write_b32 acc228, v7                     // 
s_mov_b64 s[42:43], 0xFFFFFFFFFFFFFFFF             // to restore all threads active
s_or_saveexec_b64 vcc, s[42:43]                    // all threads active
s_branch label_0168                                // done shifting


/******************************************/
/* shift d0 r=3 mb=2 vw0                  */
/******************************************/
label_0057: // r3 mb2 vw0 
s_mov_b32 s42, 4                                   // 
_v_cmpx_eq_u32 s[42:43], v4, s42                   // is thread in edge glvw region
v_and_b32 v0, 63, v[vgprSerial]                    // permute register between threads
v_lshlrev_b32 v0, 2, v0                            // permute register between threads
v_accvgpr_read_b32 v5, acc27                       // glvw 3 mb 2 tt1 0 r 0
v_accvgpr_read_b32 v6, acc43                       // glvw 3 mb 2 tt1 0 r 0
v_accvgpr_read_b32 v7, acc59                       // glvw 3 mb 2 tt1 0 r 0
s_nop 1                                            // v_accvgpr read vgpr after write vgpr: 2 wait states
v_accvgpr_write_b32 acc8, v5                       // 
v_accvgpr_write_b32 acc24, v6                      // 
v_accvgpr_write_b32 acc40, v7                      // 
v_accvgpr_read_b32 v5, acc91                       // glvw 3 mb 2 tt1 1 r 0
v_accvgpr_read_b32 v6, acc107                      // glvw 3 mb 2 tt1 1 r 0
v_accvgpr_read_b32 v7, acc123                      // glvw 3 mb 2 tt1 1 r 0
s_nop 1                                            // v_accvgpr read vgpr after write vgpr: 2 wait states
v_accvgpr_write_b32 acc72, v5                      // 
v_accvgpr_write_b32 acc88, v6                      // 
v_accvgpr_write_b32 acc104, v7                     // 
v_accvgpr_read_b32 v5, acc155                      // glvw 3 mb 2 tt1 2 r 0
v_accvgpr_read_b32 v6, acc171                      // glvw 3 mb 2 tt1 2 r 0
v_accvgpr_read_b32 v7, acc187                      // glvw 3 mb 2 tt1 2 r 0
s_nop 1                                            // v_accvgpr read vgpr after write vgpr: 2 wait states
v_accvgpr_write_b32 acc136, v5                     // 
v_accvgpr_write_b32 acc152, v6                     // 
v_accvgpr_write_b32 acc168, v7                     // 
v_accvgpr_read_b32 v5, acc219                      // glvw 3 mb 2 tt1 3 r 0
v_accvgpr_read_b32 v6, acc235                      // glvw 3 mb 2 tt1 3 r 0
v_accvgpr_read_b32 v7, acc251                      // glvw 3 mb 2 tt1 3 r 0
s_nop 1                                            // v_accvgpr read vgpr after write vgpr: 2 wait states
v_accvgpr_write_b32 acc200, v5                     // 
v_accvgpr_write_b32 acc216, v6                     // 
v_accvgpr_write_b32 acc232, v7                     // 
s_mov_b64 s[42:43], 0xFFFFFFFFFFFFFFFF             // to restore all threads active
s_or_saveexec_b64 vcc, s[42:43]                    // all threads active
s_branch label_0168                                // done shifting


/******************************************/
/* shift d0 r=3 mb=3 vw0                  */
/******************************************/
label_0059: // r3 mb3 vw0 
s_mov_b32 s42, 6                                   // 
_v_cmpx_eq_u32 s[42:43], v4, s42                   // is thread in edge glvw region
v_and_b32 v0, 63, v[vgprSerial]                    // permute register between threads
v_lshlrev_b32 v0, 2, v0                            // permute register between threads
v_accvgpr_read_b32 v5, acc31                       // glvw 3 mb 3 tt1 0 r 0
v_accvgpr_read_b32 v6, acc47                       // glvw 3 mb 3 tt1 0 r 0
v_accvgpr_read_b32 v7, acc63                       // glvw 3 mb 3 tt1 0 r 0
s_nop 1                                            // v_accvgpr read vgpr after write vgpr: 2 wait states
v_accvgpr_write_b32 acc12, v5                      // 
v_accvgpr_write_b32 acc28, v6                      // 
v_accvgpr_write_b32 acc44, v7                      // 
v_accvgpr_read_b32 v5, acc95                       // glvw 3 mb 3 tt1 1 r 0
v_accvgpr_read_b32 v6, acc111                      // glvw 3 mb 3 tt1 1 r 0
v_accvgpr_read_b32 v7, acc127                      // glvw 3 mb 3 tt1 1 r 0
s_nop 1                                            // v_accvgpr read vgpr after write vgpr: 2 wait states
v_accvgpr_write_b32 acc76, v5                      // 
v_accvgpr_write_b32 acc92, v6                      // 
v_accvgpr_write_b32 acc108, v7                     // 
v_accvgpr_read_b32 v5, acc159                      // glvw 3 mb 3 tt1 2 r 0
v_accvgpr_read_b32 v6, acc175                      // glvw 3 mb 3 tt1 2 r 0
v_accvgpr_read_b32 v7, acc191                      // glvw 3 mb 3 tt1 2 r 0
s_nop 1                                            // v_accvgpr read vgpr after write vgpr: 2 wait states
v_accvgpr_write_b32 acc140, v5                     // 
v_accvgpr_write_b32 acc156, v6                     // 
v_accvgpr_write_b32 acc172, v7                     // 
v_accvgpr_read_b32 v5, acc223                      // glvw 3 mb 3 tt1 3 r 0
v_accvgpr_read_b32 v6, acc239                      // glvw 3 mb 3 tt1 3 r 0
v_accvgpr_read_b32 v7, acc255                      // glvw 3 mb 3 tt1 3 r 0
s_nop 1                                            // v_accvgpr read vgpr after write vgpr: 2 wait states
v_accvgpr_write_b32 acc204, v5                     // 
v_accvgpr_write_b32 acc220, v6                     // 
v_accvgpr_write_b32 acc236, v7                     // 
s_mov_b64 s[42:43], 0xFFFFFFFFFFFFFFFF             // to restore all threads active
s_or_saveexec_b64 vcc, s[42:43]                    // all threads active
s_branch label_0168                                // done shifting


/******************************************/
/* shift d0 r=4 mb=0 vw0                  */
/******************************************/
label_0062: // r4 mb0 vw0 
s_mov_b32 s42, 0                                   // 
_v_cmpx_eq_u32 s[42:43], v4, s42                   // is thread in edge glvw region
v_and_b32 v0, 63, v[vgprSerial]                    // permute register between threads
v_lshlrev_b32 v0, 2, v0                            // permute register between threads
v_accvgpr_read_b32 v5, acc3                        // glvw 4 mb 0 tt1 0 r 0
v_accvgpr_read_b32 v6, acc19                       // glvw 4 mb 0 tt1 0 r 0
v_accvgpr_read_b32 v7, acc35                       // glvw 4 mb 0 tt1 0 r 0
v_accvgpr_read_b32 v8, acc51                       // glvw 4 mb 0 tt1 0 r 0
s_nop 1                                            // v_accvgpr read vgpr after write vgpr: 2 wait states
v_accvgpr_write_b32 acc0, v5                       // 
v_accvgpr_write_b32 acc16, v6                      // 
v_accvgpr_write_b32 acc32, v7                      // 
v_accvgpr_write_b32 acc48, v8                      // 
v_accvgpr_read_b32 v5, acc67                       // glvw 4 mb 0 tt1 1 r 0
v_accvgpr_read_b32 v6, acc83                       // glvw 4 mb 0 tt1 1 r 0
v_accvgpr_read_b32 v7, acc99                       // glvw 4 mb 0 tt1 1 r 0
v_accvgpr_read_b32 v8, acc115                      // glvw 4 mb 0 tt1 1 r 0
s_nop 1                                            // v_accvgpr read vgpr after write vgpr: 2 wait states
v_accvgpr_write_b32 acc64, v5                      // 
v_accvgpr_write_b32 acc80, v6                      // 
v_accvgpr_write_b32 acc96, v7                      // 
v_accvgpr_write_b32 acc112, v8                     // 
v_accvgpr_read_b32 v5, acc131                      // glvw 4 mb 0 tt1 2 r 0
v_accvgpr_read_b32 v6, acc147                      // glvw 4 mb 0 tt1 2 r 0
v_accvgpr_read_b32 v7, acc163                      // glvw 4 mb 0 tt1 2 r 0
v_accvgpr_read_b32 v8, acc179                      // glvw 4 mb 0 tt1 2 r 0
s_nop 1                                            // v_accvgpr read vgpr after write vgpr: 2 wait states
v_accvgpr_write_b32 acc128, v5                     // 
v_accvgpr_write_b32 acc144, v6                     // 
v_accvgpr_write_b32 acc160, v7                     // 
v_accvgpr_write_b32 acc176, v8                     // 
v_accvgpr_read_b32 v5, acc195                      // glvw 4 mb 0 tt1 3 r 0
v_accvgpr_read_b32 v6, acc211                      // glvw 4 mb 0 tt1 3 r 0
v_accvgpr_read_b32 v7, acc227                      // glvw 4 mb 0 tt1 3 r 0
v_accvgpr_read_b32 v8, acc243                      // glvw 4 mb 0 tt1 3 r 0
s_nop 1                                            // v_accvgpr read vgpr after write vgpr: 2 wait states
v_accvgpr_write_b32 acc192, v5                     // 
v_accvgpr_write_b32 acc208, v6                     // 
v_accvgpr_write_b32 acc224, v7                     // 
v_accvgpr_write_b32 acc240, v8                     // 
s_mov_b64 s[42:43], 0xFFFFFFFFFFFFFFFF             // to restore all threads active
s_or_saveexec_b64 vcc, s[42:43]                    // all threads active
s_branch label_0168                                // done shifting


/******************************************/
/* shift d0 r=4 mb=1 vw0                  */
/******************************************/
label_0064: // r4 mb1 vw0 
s_mov_b32 s42, 2                                   // 
_v_cmpx_eq_u32 s[42:43], v4, s42                   // is thread in edge glvw region
v_and_b32 v0, 63, v[vgprSerial]                    // permute register between threads
v_lshlrev_b32 v0, 2, v0                            // permute register between threads
v_accvgpr_read_b32 v5, acc7                        // glvw 4 mb 1 tt1 0 r 0
v_accvgpr_read_b32 v6, acc23                       // glvw 4 mb 1 tt1 0 r 0
v_accvgpr_read_b32 v7, acc39                       // glvw 4 mb 1 tt1 0 r 0
v_accvgpr_read_b32 v8, acc55                       // glvw 4 mb 1 tt1 0 r 0
s_nop 1                                            // v_accvgpr read vgpr after write vgpr: 2 wait states
v_accvgpr_write_b32 acc4, v5                       // 
v_accvgpr_write_b32 acc20, v6                      // 
v_accvgpr_write_b32 acc36, v7                      // 
v_accvgpr_write_b32 acc52, v8                      // 
v_accvgpr_read_b32 v5, acc71                       // glvw 4 mb 1 tt1 1 r 0
v_accvgpr_read_b32 v6, acc87                       // glvw 4 mb 1 tt1 1 r 0
v_accvgpr_read_b32 v7, acc103                      // glvw 4 mb 1 tt1 1 r 0
v_accvgpr_read_b32 v8, acc119                      // glvw 4 mb 1 tt1 1 r 0
s_nop 1                                            // v_accvgpr read vgpr after write vgpr: 2 wait states
v_accvgpr_write_b32 acc68, v5                      // 
v_accvgpr_write_b32 acc84, v6                      // 
v_accvgpr_write_b32 acc100, v7                     // 
v_accvgpr_write_b32 acc116, v8                     // 
v_accvgpr_read_b32 v5, acc135                      // glvw 4 mb 1 tt1 2 r 0
v_accvgpr_read_b32 v6, acc151                      // glvw 4 mb 1 tt1 2 r 0
v_accvgpr_read_b32 v7, acc167                      // glvw 4 mb 1 tt1 2 r 0
v_accvgpr_read_b32 v8, acc183                      // glvw 4 mb 1 tt1 2 r 0
s_nop 1                                            // v_accvgpr read vgpr after write vgpr: 2 wait states
v_accvgpr_write_b32 acc132, v5                     // 
v_accvgpr_write_b32 acc148, v6                     // 
v_accvgpr_write_b32 acc164, v7                     // 
v_accvgpr_write_b32 acc180, v8                     // 
v_accvgpr_read_b32 v5, acc199                      // glvw 4 mb 1 tt1 3 r 0
v_accvgpr_read_b32 v6, acc215                      // glvw 4 mb 1 tt1 3 r 0
v_accvgpr_read_b32 v7, acc231                      // glvw 4 mb 1 tt1 3 r 0
v_accvgpr_read_b32 v8, acc247                      // glvw 4 mb 1 tt1 3 r 0
s_nop 1                                            // v_accvgpr read vgpr after write vgpr: 2 wait states
v_accvgpr_write_b32 acc196, v5                     // 
v_accvgpr_write_b32 acc212, v6                     // 
v_accvgpr_write_b32 acc228, v7                     // 
v_accvgpr_write_b32 acc244, v8                     // 
s_mov_b64 s[42:43], 0xFFFFFFFFFFFFFFFF             // to restore all threads active
s_or_saveexec_b64 vcc, s[42:43]                    // all threads active
s_branch label_0168                                // done shifting


/******************************************/
/* shift d0 r=4 mb=2 vw0                  */
/******************************************/
label_0066: // r4 mb2 vw0 
s_mov_b32 s42, 4                                   // 
_v_cmpx_eq_u32 s[42:43], v4, s42                   // is thread in edge glvw region
v_and_b32 v0, 63, v[vgprSerial]                    // permute register between threads
v_lshlrev_b32 v0, 2, v0                            // permute register between threads
v_accvgpr_read_b32 v5, acc11                       // glvw 4 mb 2 tt1 0 r 0
v_accvgpr_read_b32 v6, acc27                       // glvw 4 mb 2 tt1 0 r 0
v_accvgpr_read_b32 v7, acc43                       // glvw 4 mb 2 tt1 0 r 0
v_accvgpr_read_b32 v8, acc59                       // glvw 4 mb 2 tt1 0 r 0
s_nop 1                                            // v_accvgpr read vgpr after write vgpr: 2 wait states
v_accvgpr_write_b32 acc8, v5                       // 
v_accvgpr_write_b32 acc24, v6                      // 
v_accvgpr_write_b32 acc40, v7                      // 
v_accvgpr_write_b32 acc56, v8                      // 
v_accvgpr_read_b32 v5, acc75                       // glvw 4 mb 2 tt1 1 r 0
v_accvgpr_read_b32 v6, acc91                       // glvw 4 mb 2 tt1 1 r 0
v_accvgpr_read_b32 v7, acc107                      // glvw 4 mb 2 tt1 1 r 0
v_accvgpr_read_b32 v8, acc123                      // glvw 4 mb 2 tt1 1 r 0
s_nop 1                                            // v_accvgpr read vgpr after write vgpr: 2 wait states
v_accvgpr_write_b32 acc72, v5                      // 
v_accvgpr_write_b32 acc88, v6                      // 
v_accvgpr_write_b32 acc104, v7                     // 
v_accvgpr_write_b32 acc120, v8                     // 
v_accvgpr_read_b32 v5, acc139                      // glvw 4 mb 2 tt1 2 r 0
v_accvgpr_read_b32 v6, acc155                      // glvw 4 mb 2 tt1 2 r 0
v_accvgpr_read_b32 v7, acc171                      // glvw 4 mb 2 tt1 2 r 0
v_accvgpr_read_b32 v8, acc187                      // glvw 4 mb 2 tt1 2 r 0
s_nop 1                                            // v_accvgpr read vgpr after write vgpr: 2 wait states
v_accvgpr_write_b32 acc136, v5                     // 
v_accvgpr_write_b32 acc152, v6                     // 
v_accvgpr_write_b32 acc168, v7                     // 
v_accvgpr_write_b32 acc184, v8                     // 
v_accvgpr_read_b32 v5, acc203                      // glvw 4 mb 2 tt1 3 r 0
v_accvgpr_read_b32 v6, acc219                      // glvw 4 mb 2 tt1 3 r 0
v_accvgpr_read_b32 v7, acc235                      // glvw 4 mb 2 tt1 3 r 0
v_accvgpr_read_b32 v8, acc251                      // glvw 4 mb 2 tt1 3 r 0
s_nop 1                                            // v_accvgpr read vgpr after write vgpr: 2 wait states
v_accvgpr_write_b32 acc200, v5                     // 
v_accvgpr_write_b32 acc216, v6                     // 
v_accvgpr_write_b32 acc232, v7                     // 
v_accvgpr_write_b32 acc248, v8                     // 
s_mov_b64 s[42:43], 0xFFFFFFFFFFFFFFFF             // to restore all threads active
s_or_saveexec_b64 vcc, s[42:43]                    // all threads active
s_branch label_0168                                // done shifting


/******************************************/
/* shift d0 r=4 mb=3 vw0                  */
/******************************************/
label_0068: // r4 mb3 vw0 
s_mov_b32 s42, 6                                   // 
_v_cmpx_eq_u32 s[42:43], v4, s42                   // is thread in edge glvw region
v_and_b32 v0, 63, v[vgprSerial]                    // permute register between threads
v_lshlrev_b32 v0, 2, v0                            // permute register between threads
v_accvgpr_read_b32 v5, acc15                       // glvw 4 mb 3 tt1 0 r 0
v_accvgpr_read_b32 v6, acc31                       // glvw 4 mb 3 tt1 0 r 0
v_accvgpr_read_b32 v7, acc47                       // glvw 4 mb 3 tt1 0 r 0
v_accvgpr_read_b32 v8, acc63                       // glvw 4 mb 3 tt1 0 r 0
s_nop 1                                            // v_accvgpr read vgpr after write vgpr: 2 wait states
v_accvgpr_write_b32 acc12, v5                      // 
v_accvgpr_write_b32 acc28, v6                      // 
v_accvgpr_write_b32 acc44, v7                      // 
v_accvgpr_write_b32 acc60, v8                      // 
v_accvgpr_read_b32 v5, acc79                       // glvw 4 mb 3 tt1 1 r 0
v_accvgpr_read_b32 v6, acc95                       // glvw 4 mb 3 tt1 1 r 0
v_accvgpr_read_b32 v7, acc111                      // glvw 4 mb 3 tt1 1 r 0
v_accvgpr_read_b32 v8, acc127                      // glvw 4 mb 3 tt1 1 r 0
s_nop 1                                            // v_accvgpr read vgpr after write vgpr: 2 wait states
v_accvgpr_write_b32 acc76, v5                      // 
v_accvgpr_write_b32 acc92, v6                      // 
v_accvgpr_write_b32 acc108, v7                     // 
v_accvgpr_write_b32 acc124, v8                     // 
v_accvgpr_read_b32 v5, acc143                      // glvw 4 mb 3 tt1 2 r 0
v_accvgpr_read_b32 v6, acc159                      // glvw 4 mb 3 tt1 2 r 0
v_accvgpr_read_b32 v7, acc175                      // glvw 4 mb 3 tt1 2 r 0
v_accvgpr_read_b32 v8, acc191                      // glvw 4 mb 3 tt1 2 r 0
s_nop 1                                            // v_accvgpr read vgpr after write vgpr: 2 wait states
v_accvgpr_write_b32 acc140, v5                     // 
v_accvgpr_write_b32 acc156, v6                     // 
v_accvgpr_write_b32 acc172, v7                     // 
v_accvgpr_write_b32 acc188, v8                     // 
v_accvgpr_read_b32 v5, acc207                      // glvw 4 mb 3 tt1 3 r 0
v_accvgpr_read_b32 v6, acc223                      // glvw 4 mb 3 tt1 3 r 0
v_accvgpr_read_b32 v7, acc239                      // glvw 4 mb 3 tt1 3 r 0
v_accvgpr_read_b32 v8, acc255                      // glvw 4 mb 3 tt1 3 r 0
s_nop 1                                            // v_accvgpr read vgpr after write vgpr: 2 wait states
v_accvgpr_write_b32 acc204, v5                     // 
v_accvgpr_write_b32 acc220, v6                     // 
v_accvgpr_write_b32 acc236, v7                     // 
v_accvgpr_write_b32 acc252, v8                     // 
s_mov_b64 s[42:43], 0xFFFFFFFFFFFFFFFF             // to restore all threads active
s_or_saveexec_b64 vcc, s[42:43]                    // all threads active
s_branch label_0168                                // done shifting


/******************************************/
/* shift d0 r=5 mb=0 vw0                  */
/******************************************/
label_0071: // r5 mb0 vw0 
s_mov_b32 s42, 0                                   // 
_v_cmpx_eq_u32 s[42:43], v4, s42                   // is thread in edge glvw region
v_and_b32 v0, 63, v[vgprSerial]                    // permute register between threads
v_lshlrev_b32 v0, 2, v0                            // permute register between threads
v_accvgpr_read_b32 v5, acc50                       // glvw 5 mb 0 tt1 0 r 0
v_accvgpr_read_b32 v6, acc3                        // glvw 5 mb 0 tt1 0 r 0
v_accvgpr_read_b32 v7, acc19                       // glvw 5 mb 0 tt1 0 r 0
v_accvgpr_read_b32 v8, acc35                       // glvw 5 mb 0 tt1 0 r 0
v_accvgpr_read_b32 v9, acc51                       // glvw 5 mb 0 tt1 0 r 0
s_nop 1                                            // v_accvgpr read vgpr after write vgpr: 2 wait states
v_accvgpr_write_b32 acc0, v5                       // 
v_accvgpr_write_b32 acc16, v6                      // 
v_accvgpr_write_b32 acc32, v7                      // 
v_accvgpr_write_b32 acc48, v8                      // 
v_accvgpr_write_b32 acc1, v9                       // 
v_accvgpr_read_b32 v5, acc114                      // glvw 5 mb 0 tt1 1 r 0
v_accvgpr_read_b32 v6, acc67                       // glvw 5 mb 0 tt1 1 r 0
v_accvgpr_read_b32 v7, acc83                       // glvw 5 mb 0 tt1 1 r 0
v_accvgpr_read_b32 v8, acc99                       // glvw 5 mb 0 tt1 1 r 0
v_accvgpr_read_b32 v9, acc115                      // glvw 5 mb 0 tt1 1 r 0
s_nop 1                                            // v_accvgpr read vgpr after write vgpr: 2 wait states
v_accvgpr_write_b32 acc64, v5                      // 
v_accvgpr_write_b32 acc80, v6                      // 
v_accvgpr_write_b32 acc96, v7                      // 
v_accvgpr_write_b32 acc112, v8                     // 
v_accvgpr_write_b32 acc65, v9                      // 
v_accvgpr_read_b32 v5, acc178                      // glvw 5 mb 0 tt1 2 r 0
v_accvgpr_read_b32 v6, acc131                      // glvw 5 mb 0 tt1 2 r 0
v_accvgpr_read_b32 v7, acc147                      // glvw 5 mb 0 tt1 2 r 0
v_accvgpr_read_b32 v8, acc163                      // glvw 5 mb 0 tt1 2 r 0
v_accvgpr_read_b32 v9, acc179                      // glvw 5 mb 0 tt1 2 r 0
s_nop 1                                            // v_accvgpr read vgpr after write vgpr: 2 wait states
v_accvgpr_write_b32 acc128, v5                     // 
v_accvgpr_write_b32 acc144, v6                     // 
v_accvgpr_write_b32 acc160, v7                     // 
v_accvgpr_write_b32 acc176, v8                     // 
v_accvgpr_write_b32 acc129, v9                     // 
v_accvgpr_read_b32 v5, acc242                      // glvw 5 mb 0 tt1 3 r 0
v_accvgpr_read_b32 v6, acc195                      // glvw 5 mb 0 tt1 3 r 0
v_accvgpr_read_b32 v7, acc211                      // glvw 5 mb 0 tt1 3 r 0
v_accvgpr_read_b32 v8, acc227                      // glvw 5 mb 0 tt1 3 r 0
v_accvgpr_read_b32 v9, acc243                      // glvw 5 mb 0 tt1 3 r 0
s_nop 1                                            // v_accvgpr read vgpr after write vgpr: 2 wait states
v_accvgpr_write_b32 acc192, v5                     // 
v_accvgpr_write_b32 acc208, v6                     // 
v_accvgpr_write_b32 acc224, v7                     // 
v_accvgpr_write_b32 acc240, v8                     // 
v_accvgpr_write_b32 acc193, v9                     // 
s_mov_b64 s[42:43], 0xFFFFFFFFFFFFFFFF             // to restore all threads active
s_or_saveexec_b64 vcc, s[42:43]                    // all threads active
s_branch label_0168                                // done shifting


/******************************************/
/* shift d0 r=5 mb=1 vw0                  */
/******************************************/
label_0073: // r5 mb1 vw0 
s_mov_b32 s42, 2                                   // 
_v_cmpx_eq_u32 s[42:43], v4, s42                   // is thread in edge glvw region
v_and_b32 v0, 63, v[vgprSerial]                    // permute register between threads
v_lshlrev_b32 v0, 2, v0                            // permute register between threads
v_accvgpr_read_b32 v5, acc54                       // glvw 5 mb 1 tt1 0 r 0
v_accvgpr_read_b32 v6, acc7                        // glvw 5 mb 1 tt1 0 r 0
v_accvgpr_read_b32 v7, acc23                       // glvw 5 mb 1 tt1 0 r 0
v_accvgpr_read_b32 v8, acc39                       // glvw 5 mb 1 tt1 0 r 0
v_accvgpr_read_b32 v9, acc55                       // glvw 5 mb 1 tt1 0 r 0
s_nop 1                                            // v_accvgpr read vgpr after write vgpr: 2 wait states
v_accvgpr_write_b32 acc4, v5                       // 
v_accvgpr_write_b32 acc20, v6                      // 
v_accvgpr_write_b32 acc36, v7                      // 
v_accvgpr_write_b32 acc52, v8                      // 
v_accvgpr_write_b32 acc5, v9                       // 
v_accvgpr_read_b32 v5, acc118                      // glvw 5 mb 1 tt1 1 r 0
v_accvgpr_read_b32 v6, acc71                       // glvw 5 mb 1 tt1 1 r 0
v_accvgpr_read_b32 v7, acc87                       // glvw 5 mb 1 tt1 1 r 0
v_accvgpr_read_b32 v8, acc103                      // glvw 5 mb 1 tt1 1 r 0
v_accvgpr_read_b32 v9, acc119                      // glvw 5 mb 1 tt1 1 r 0
s_nop 1                                            // v_accvgpr read vgpr after write vgpr: 2 wait states
v_accvgpr_write_b32 acc68, v5                      // 
v_accvgpr_write_b32 acc84, v6                      // 
v_accvgpr_write_b32 acc100, v7                     // 
v_accvgpr_write_b32 acc116, v8                     // 
v_accvgpr_write_b32 acc69, v9                      // 
v_accvgpr_read_b32 v5, acc182                      // glvw 5 mb 1 tt1 2 r 0
v_accvgpr_read_b32 v6, acc135                      // glvw 5 mb 1 tt1 2 r 0
v_accvgpr_read_b32 v7, acc151                      // glvw 5 mb 1 tt1 2 r 0
v_accvgpr_read_b32 v8, acc167                      // glvw 5 mb 1 tt1 2 r 0
v_accvgpr_read_b32 v9, acc183                      // glvw 5 mb 1 tt1 2 r 0
s_nop 1                                            // v_accvgpr read vgpr after write vgpr: 2 wait states
v_accvgpr_write_b32 acc132, v5                     // 
v_accvgpr_write_b32 acc148, v6                     // 
v_accvgpr_write_b32 acc164, v7                     // 
v_accvgpr_write_b32 acc180, v8                     // 
v_accvgpr_write_b32 acc133, v9                     // 
v_accvgpr_read_b32 v5, acc246                      // glvw 5 mb 1 tt1 3 r 0
v_accvgpr_read_b32 v6, acc199                      // glvw 5 mb 1 tt1 3 r 0
v_accvgpr_read_b32 v7, acc215                      // glvw 5 mb 1 tt1 3 r 0
v_accvgpr_read_b32 v8, acc231                      // glvw 5 mb 1 tt1 3 r 0
v_accvgpr_read_b32 v9, acc247                      // glvw 5 mb 1 tt1 3 r 0
s_nop 1                                            // v_accvgpr read vgpr after write vgpr: 2 wait states
v_accvgpr_write_b32 acc196, v5                     // 
v_accvgpr_write_b32 acc212, v6                     // 
v_accvgpr_write_b32 acc228, v7                     // 
v_accvgpr_write_b32 acc244, v8                     // 
v_accvgpr_write_b32 acc197, v9                     // 
s_mov_b64 s[42:43], 0xFFFFFFFFFFFFFFFF             // to restore all threads active
s_or_saveexec_b64 vcc, s[42:43]                    // all threads active
s_branch label_0168                                // done shifting


/******************************************/
/* shift d0 r=5 mb=2 vw0                  */
/******************************************/
label_0075: // r5 mb2 vw0 
s_mov_b32 s42, 4                                   // 
_v_cmpx_eq_u32 s[42:43], v4, s42                   // is thread in edge glvw region
v_and_b32 v0, 63, v[vgprSerial]                    // permute register between threads
v_lshlrev_b32 v0, 2, v0                            // permute register between threads
v_accvgpr_read_b32 v5, acc58                       // glvw 5 mb 2 tt1 0 r 0
v_accvgpr_read_b32 v6, acc11                       // glvw 5 mb 2 tt1 0 r 0
v_accvgpr_read_b32 v7, acc27                       // glvw 5 mb 2 tt1 0 r 0
v_accvgpr_read_b32 v8, acc43                       // glvw 5 mb 2 tt1 0 r 0
v_accvgpr_read_b32 v9, acc59                       // glvw 5 mb 2 tt1 0 r 0
s_nop 1                                            // v_accvgpr read vgpr after write vgpr: 2 wait states
v_accvgpr_write_b32 acc8, v5                       // 
v_accvgpr_write_b32 acc24, v6                      // 
v_accvgpr_write_b32 acc40, v7                      // 
v_accvgpr_write_b32 acc56, v8                      // 
v_accvgpr_write_b32 acc9, v9                       // 
v_accvgpr_read_b32 v5, acc122                      // glvw 5 mb 2 tt1 1 r 0
v_accvgpr_read_b32 v6, acc75                       // glvw 5 mb 2 tt1 1 r 0
v_accvgpr_read_b32 v7, acc91                       // glvw 5 mb 2 tt1 1 r 0
v_accvgpr_read_b32 v8, acc107                      // glvw 5 mb 2 tt1 1 r 0
v_accvgpr_read_b32 v9, acc123                      // glvw 5 mb 2 tt1 1 r 0
s_nop 1                                            // v_accvgpr read vgpr after write vgpr: 2 wait states
v_accvgpr_write_b32 acc72, v5                      // 
v_accvgpr_write_b32 acc88, v6                      // 
v_accvgpr_write_b32 acc104, v7                     // 
v_accvgpr_write_b32 acc120, v8                     // 
v_accvgpr_write_b32 acc73, v9                      // 
v_accvgpr_read_b32 v5, acc186                      // glvw 5 mb 2 tt1 2 r 0
v_accvgpr_read_b32 v6, acc139                      // glvw 5 mb 2 tt1 2 r 0
v_accvgpr_read_b32 v7, acc155                      // glvw 5 mb 2 tt1 2 r 0
v_accvgpr_read_b32 v8, acc171                      // glvw 5 mb 2 tt1 2 r 0
v_accvgpr_read_b32 v9, acc187                      // glvw 5 mb 2 tt1 2 r 0
s_nop 1                                            // v_accvgpr read vgpr after write vgpr: 2 wait states
v_accvgpr_write_b32 acc136, v5                     // 
v_accvgpr_write_b32 acc152, v6                     // 
v_accvgpr_write_b32 acc168, v7                     // 
v_accvgpr_write_b32 acc184, v8                     // 
v_accvgpr_write_b32 acc137, v9                     // 
v_accvgpr_read_b32 v5, acc250                      // glvw 5 mb 2 tt1 3 r 0
v_accvgpr_read_b32 v6, acc203                      // glvw 5 mb 2 tt1 3 r 0
v_accvgpr_read_b32 v7, acc219                      // glvw 5 mb 2 tt1 3 r 0
v_accvgpr_read_b32 v8, acc235                      // glvw 5 mb 2 tt1 3 r 0
v_accvgpr_read_b32 v9, acc251                      // glvw 5 mb 2 tt1 3 r 0
s_nop 1                                            // v_accvgpr read vgpr after write vgpr: 2 wait states
v_accvgpr_write_b32 acc200, v5                     // 
v_accvgpr_write_b32 acc216, v6                     // 
v_accvgpr_write_b32 acc232, v7                     // 
v_accvgpr_write_b32 acc248, v8                     // 
v_accvgpr_write_b32 acc201, v9                     // 
s_mov_b64 s[42:43], 0xFFFFFFFFFFFFFFFF             // to restore all threads active
s_or_saveexec_b64 vcc, s[42:43]                    // all threads active
s_branch label_0168                                // done shifting


/******************************************/
/* shift d0 r=5 mb=3 vw0                  */
/******************************************/
label_0077: // r5 mb3 vw0 
s_mov_b32 s42, 6                                   // 
_v_cmpx_eq_u32 s[42:43], v4, s42                   // is thread in edge glvw region
v_and_b32 v0, 63, v[vgprSerial]                    // permute register between threads
v_lshlrev_b32 v0, 2, v0                            // permute register between threads
v_accvgpr_read_b32 v5, acc62                       // glvw 5 mb 3 tt1 0 r 0
v_accvgpr_read_b32 v6, acc15                       // glvw 5 mb 3 tt1 0 r 0
v_accvgpr_read_b32 v7, acc31                       // glvw 5 mb 3 tt1 0 r 0
v_accvgpr_read_b32 v8, acc47                       // glvw 5 mb 3 tt1 0 r 0
v_accvgpr_read_b32 v9, acc63                       // glvw 5 mb 3 tt1 0 r 0
s_nop 1                                            // v_accvgpr read vgpr after write vgpr: 2 wait states
v_accvgpr_write_b32 acc12, v5                      // 
v_accvgpr_write_b32 acc28, v6                      // 
v_accvgpr_write_b32 acc44, v7                      // 
v_accvgpr_write_b32 acc60, v8                      // 
v_accvgpr_write_b32 acc13, v9                      // 
v_accvgpr_read_b32 v5, acc126                      // glvw 5 mb 3 tt1 1 r 0
v_accvgpr_read_b32 v6, acc79                       // glvw 5 mb 3 tt1 1 r 0
v_accvgpr_read_b32 v7, acc95                       // glvw 5 mb 3 tt1 1 r 0
v_accvgpr_read_b32 v8, acc111                      // glvw 5 mb 3 tt1 1 r 0
v_accvgpr_read_b32 v9, acc127                      // glvw 5 mb 3 tt1 1 r 0
s_nop 1                                            // v_accvgpr read vgpr after write vgpr: 2 wait states
v_accvgpr_write_b32 acc76, v5                      // 
v_accvgpr_write_b32 acc92, v6                      // 
v_accvgpr_write_b32 acc108, v7                     // 
v_accvgpr_write_b32 acc124, v8                     // 
v_accvgpr_write_b32 acc77, v9                      // 
v_accvgpr_read_b32 v5, acc190                      // glvw 5 mb 3 tt1 2 r 0
v_accvgpr_read_b32 v6, acc143                      // glvw 5 mb 3 tt1 2 r 0
v_accvgpr_read_b32 v7, acc159                      // glvw 5 mb 3 tt1 2 r 0
v_accvgpr_read_b32 v8, acc175                      // glvw 5 mb 3 tt1 2 r 0
v_accvgpr_read_b32 v9, acc191                      // glvw 5 mb 3 tt1 2 r 0
s_nop 1                                            // v_accvgpr read vgpr after write vgpr: 2 wait states
v_accvgpr_write_b32 acc140, v5                     // 
v_accvgpr_write_b32 acc156, v6                     // 
v_accvgpr_write_b32 acc172, v7                     // 
v_accvgpr_write_b32 acc188, v8                     // 
v_accvgpr_write_b32 acc141, v9                     // 
v_accvgpr_read_b32 v5, acc254                      // glvw 5 mb 3 tt1 3 r 0
v_accvgpr_read_b32 v6, acc207                      // glvw 5 mb 3 tt1 3 r 0
v_accvgpr_read_b32 v7, acc223                      // glvw 5 mb 3 tt1 3 r 0
v_accvgpr_read_b32 v8, acc239                      // glvw 5 mb 3 tt1 3 r 0
v_accvgpr_read_b32 v9, acc255                      // glvw 5 mb 3 tt1 3 r 0
s_nop 1                                            // v_accvgpr read vgpr after write vgpr: 2 wait states
v_accvgpr_write_b32 acc204, v5                     // 
v_accvgpr_write_b32 acc220, v6                     // 
v_accvgpr_write_b32 acc236, v7                     // 
v_accvgpr_write_b32 acc252, v8                     // 
v_accvgpr_write_b32 acc205, v9                     // 
s_mov_b64 s[42:43], 0xFFFFFFFFFFFFFFFF             // to restore all threads active
s_or_saveexec_b64 vcc, s[42:43]                    // all threads active
s_branch label_0168                                // done shifting


/******************************************/
/* shift d0 r=6 mb=0 vw0                  */
/******************************************/
label_0080: // r6 mb0 vw0 
s_mov_b32 s42, 0                                   // 
_v_cmpx_eq_u32 s[42:43], v4, s42                   // is thread in edge glvw region
v_and_b32 v0, 63, v[vgprSerial]                    // permute register between threads
v_lshlrev_b32 v0, 2, v0                            // permute register between threads
v_accvgpr_read_b32 v5, acc34                       // glvw 6 mb 0 tt1 0 r 0
v_accvgpr_read_b32 v6, acc50                       // glvw 6 mb 0 tt1 0 r 0
v_accvgpr_read_b32 v7, acc3                        // glvw 6 mb 0 tt1 0 r 0
v_accvgpr_read_b32 v8, acc19                       // glvw 6 mb 0 tt1 0 r 0
v_accvgpr_read_b32 v9, acc35                       // glvw 6 mb 0 tt1 0 r 0
v_accvgpr_read_b32 v10, acc51                      // glvw 6 mb 0 tt1 0 r 0
s_nop 1                                            // v_accvgpr read vgpr after write vgpr: 2 wait states
v_accvgpr_write_b32 acc0, v5                       // 
v_accvgpr_write_b32 acc16, v6                      // 
v_accvgpr_write_b32 acc32, v7                      // 
v_accvgpr_write_b32 acc48, v8                      // 
v_accvgpr_write_b32 acc1, v9                       // 
v_accvgpr_write_b32 acc17, v10                     // 
v_accvgpr_read_b32 v5, acc98                       // glvw 6 mb 0 tt1 1 r 0
v_accvgpr_read_b32 v6, acc114                      // glvw 6 mb 0 tt1 1 r 0
v_accvgpr_read_b32 v7, acc67                       // glvw 6 mb 0 tt1 1 r 0
v_accvgpr_read_b32 v8, acc83                       // glvw 6 mb 0 tt1 1 r 0
v_accvgpr_read_b32 v9, acc99                       // glvw 6 mb 0 tt1 1 r 0
v_accvgpr_read_b32 v10, acc115                     // glvw 6 mb 0 tt1 1 r 0
s_nop 1                                            // v_accvgpr read vgpr after write vgpr: 2 wait states
v_accvgpr_write_b32 acc64, v5                      // 
v_accvgpr_write_b32 acc80, v6                      // 
v_accvgpr_write_b32 acc96, v7                      // 
v_accvgpr_write_b32 acc112, v8                     // 
v_accvgpr_write_b32 acc65, v9                      // 
v_accvgpr_write_b32 acc81, v10                     // 
v_accvgpr_read_b32 v5, acc162                      // glvw 6 mb 0 tt1 2 r 0
v_accvgpr_read_b32 v6, acc178                      // glvw 6 mb 0 tt1 2 r 0
v_accvgpr_read_b32 v7, acc131                      // glvw 6 mb 0 tt1 2 r 0
v_accvgpr_read_b32 v8, acc147                      // glvw 6 mb 0 tt1 2 r 0
v_accvgpr_read_b32 v9, acc163                      // glvw 6 mb 0 tt1 2 r 0
v_accvgpr_read_b32 v10, acc179                     // glvw 6 mb 0 tt1 2 r 0
s_nop 1                                            // v_accvgpr read vgpr after write vgpr: 2 wait states
v_accvgpr_write_b32 acc128, v5                     // 
v_accvgpr_write_b32 acc144, v6                     // 
v_accvgpr_write_b32 acc160, v7                     // 
v_accvgpr_write_b32 acc176, v8                     // 
v_accvgpr_write_b32 acc129, v9                     // 
v_accvgpr_write_b32 acc145, v10                    // 
v_accvgpr_read_b32 v5, acc226                      // glvw 6 mb 0 tt1 3 r 0
v_accvgpr_read_b32 v6, acc242                      // glvw 6 mb 0 tt1 3 r 0
v_accvgpr_read_b32 v7, acc195                      // glvw 6 mb 0 tt1 3 r 0
v_accvgpr_read_b32 v8, acc211                      // glvw 6 mb 0 tt1 3 r 0
v_accvgpr_read_b32 v9, acc227                      // glvw 6 mb 0 tt1 3 r 0
v_accvgpr_read_b32 v10, acc243                     // glvw 6 mb 0 tt1 3 r 0
s_nop 1                                            // v_accvgpr read vgpr after write vgpr: 2 wait states
v_accvgpr_write_b32 acc192, v5                     // 
v_accvgpr_write_b32 acc208, v6                     // 
v_accvgpr_write_b32 acc224, v7                     // 
v_accvgpr_write_b32 acc240, v8                     // 
v_accvgpr_write_b32 acc193, v9                     // 
v_accvgpr_write_b32 acc209, v10                    // 
s_mov_b64 s[42:43], 0xFFFFFFFFFFFFFFFF             // to restore all threads active
s_or_saveexec_b64 vcc, s[42:43]                    // all threads active
s_branch label_0168                                // done shifting


/******************************************/
/* shift d0 r=6 mb=1 vw0                  */
/******************************************/
label_0082: // r6 mb1 vw0 
s_mov_b32 s42, 2                                   // 
_v_cmpx_eq_u32 s[42:43], v4, s42                   // is thread in edge glvw region
v_and_b32 v0, 63, v[vgprSerial]                    // permute register between threads
v_lshlrev_b32 v0, 2, v0                            // permute register between threads
v_accvgpr_read_b32 v5, acc38                       // glvw 6 mb 1 tt1 0 r 0
v_accvgpr_read_b32 v6, acc54                       // glvw 6 mb 1 tt1 0 r 0
v_accvgpr_read_b32 v7, acc7                        // glvw 6 mb 1 tt1 0 r 0
v_accvgpr_read_b32 v8, acc23                       // glvw 6 mb 1 tt1 0 r 0
v_accvgpr_read_b32 v9, acc39                       // glvw 6 mb 1 tt1 0 r 0
v_accvgpr_read_b32 v10, acc55                      // glvw 6 mb 1 tt1 0 r 0
s_nop 1                                            // v_accvgpr read vgpr after write vgpr: 2 wait states
v_accvgpr_write_b32 acc4, v5                       // 
v_accvgpr_write_b32 acc20, v6                      // 
v_accvgpr_write_b32 acc36, v7                      // 
v_accvgpr_write_b32 acc52, v8                      // 
v_accvgpr_write_b32 acc5, v9                       // 
v_accvgpr_write_b32 acc21, v10                     // 
v_accvgpr_read_b32 v5, acc102                      // glvw 6 mb 1 tt1 1 r 0
v_accvgpr_read_b32 v6, acc118                      // glvw 6 mb 1 tt1 1 r 0
v_accvgpr_read_b32 v7, acc71                       // glvw 6 mb 1 tt1 1 r 0
v_accvgpr_read_b32 v8, acc87                       // glvw 6 mb 1 tt1 1 r 0
v_accvgpr_read_b32 v9, acc103                      // glvw 6 mb 1 tt1 1 r 0
v_accvgpr_read_b32 v10, acc119                     // glvw 6 mb 1 tt1 1 r 0
s_nop 1                                            // v_accvgpr read vgpr after write vgpr: 2 wait states
v_accvgpr_write_b32 acc68, v5                      // 
v_accvgpr_write_b32 acc84, v6                      // 
v_accvgpr_write_b32 acc100, v7                     // 
v_accvgpr_write_b32 acc116, v8                     // 
v_accvgpr_write_b32 acc69, v9                      // 
v_accvgpr_write_b32 acc85, v10                     // 
v_accvgpr_read_b32 v5, acc166                      // glvw 6 mb 1 tt1 2 r 0
v_accvgpr_read_b32 v6, acc182                      // glvw 6 mb 1 tt1 2 r 0
v_accvgpr_read_b32 v7, acc135                      // glvw 6 mb 1 tt1 2 r 0
v_accvgpr_read_b32 v8, acc151                      // glvw 6 mb 1 tt1 2 r 0
v_accvgpr_read_b32 v9, acc167                      // glvw 6 mb 1 tt1 2 r 0
v_accvgpr_read_b32 v10, acc183                     // glvw 6 mb 1 tt1 2 r 0
s_nop 1                                            // v_accvgpr read vgpr after write vgpr: 2 wait states
v_accvgpr_write_b32 acc132, v5                     // 
v_accvgpr_write_b32 acc148, v6                     // 
v_accvgpr_write_b32 acc164, v7                     // 
v_accvgpr_write_b32 acc180, v8                     // 
v_accvgpr_write_b32 acc133, v9                     // 
v_accvgpr_write_b32 acc149, v10                    // 
v_accvgpr_read_b32 v5, acc230                      // glvw 6 mb 1 tt1 3 r 0
v_accvgpr_read_b32 v6, acc246                      // glvw 6 mb 1 tt1 3 r 0
v_accvgpr_read_b32 v7, acc199                      // glvw 6 mb 1 tt1 3 r 0
v_accvgpr_read_b32 v8, acc215                      // glvw 6 mb 1 tt1 3 r 0
v_accvgpr_read_b32 v9, acc231                      // glvw 6 mb 1 tt1 3 r 0
v_accvgpr_read_b32 v10, acc247                     // glvw 6 mb 1 tt1 3 r 0
s_nop 1                                            // v_accvgpr read vgpr after write vgpr: 2 wait states
v_accvgpr_write_b32 acc196, v5                     // 
v_accvgpr_write_b32 acc212, v6                     // 
v_accvgpr_write_b32 acc228, v7                     // 
v_accvgpr_write_b32 acc244, v8                     // 
v_accvgpr_write_b32 acc197, v9                     // 
v_accvgpr_write_b32 acc213, v10                    // 
s_mov_b64 s[42:43], 0xFFFFFFFFFFFFFFFF             // to restore all threads active
s_or_saveexec_b64 vcc, s[42:43]                    // all threads active
s_branch label_0168                                // done shifting


/******************************************/
/* shift d0 r=6 mb=2 vw0                  */
/******************************************/
label_0084: // r6 mb2 vw0 
s_mov_b32 s42, 4                                   // 
_v_cmpx_eq_u32 s[42:43], v4, s42                   // is thread in edge glvw region
v_and_b32 v0, 63, v[vgprSerial]                    // permute register between threads
v_lshlrev_b32 v0, 2, v0                            // permute register between threads
v_accvgpr_read_b32 v5, acc42                       // glvw 6 mb 2 tt1 0 r 0
v_accvgpr_read_b32 v6, acc58                       // glvw 6 mb 2 tt1 0 r 0
v_accvgpr_read_b32 v7, acc11                       // glvw 6 mb 2 tt1 0 r 0
v_accvgpr_read_b32 v8, acc27                       // glvw 6 mb 2 tt1 0 r 0
v_accvgpr_read_b32 v9, acc43                       // glvw 6 mb 2 tt1 0 r 0
v_accvgpr_read_b32 v10, acc59                      // glvw 6 mb 2 tt1 0 r 0
s_nop 1                                            // v_accvgpr read vgpr after write vgpr: 2 wait states
v_accvgpr_write_b32 acc8, v5                       // 
v_accvgpr_write_b32 acc24, v6                      // 
v_accvgpr_write_b32 acc40, v7                      // 
v_accvgpr_write_b32 acc56, v8                      // 
v_accvgpr_write_b32 acc9, v9                       // 
v_accvgpr_write_b32 acc25, v10                     // 
v_accvgpr_read_b32 v5, acc106                      // glvw 6 mb 2 tt1 1 r 0
v_accvgpr_read_b32 v6, acc122                      // glvw 6 mb 2 tt1 1 r 0
v_accvgpr_read_b32 v7, acc75                       // glvw 6 mb 2 tt1 1 r 0
v_accvgpr_read_b32 v8, acc91                       // glvw 6 mb 2 tt1 1 r 0
v_accvgpr_read_b32 v9, acc107                      // glvw 6 mb 2 tt1 1 r 0
v_accvgpr_read_b32 v10, acc123                     // glvw 6 mb 2 tt1 1 r 0
s_nop 1                                            // v_accvgpr read vgpr after write vgpr: 2 wait states
v_accvgpr_write_b32 acc72, v5                      // 
v_accvgpr_write_b32 acc88, v6                      // 
v_accvgpr_write_b32 acc104, v7                     // 
v_accvgpr_write_b32 acc120, v8                     // 
v_accvgpr_write_b32 acc73, v9                      // 
v_accvgpr_write_b32 acc89, v10                     // 
v_accvgpr_read_b32 v5, acc170                      // glvw 6 mb 2 tt1 2 r 0
v_accvgpr_read_b32 v6, acc186                      // glvw 6 mb 2 tt1 2 r 0
v_accvgpr_read_b32 v7, acc139                      // glvw 6 mb 2 tt1 2 r 0
v_accvgpr_read_b32 v8, acc155                      // glvw 6 mb 2 tt1 2 r 0
v_accvgpr_read_b32 v9, acc171                      // glvw 6 mb 2 tt1 2 r 0
v_accvgpr_read_b32 v10, acc187                     // glvw 6 mb 2 tt1 2 r 0
s_nop 1                                            // v_accvgpr read vgpr after write vgpr: 2 wait states
v_accvgpr_write_b32 acc136, v5                     // 
v_accvgpr_write_b32 acc152, v6                     // 
v_accvgpr_write_b32 acc168, v7                     // 
v_accvgpr_write_b32 acc184, v8                     // 
v_accvgpr_write_b32 acc137, v9                     // 
v_accvgpr_write_b32 acc153, v10                    // 
v_accvgpr_read_b32 v5, acc234                      // glvw 6 mb 2 tt1 3 r 0
v_accvgpr_read_b32 v6, acc250                      // glvw 6 mb 2 tt1 3 r 0
v_accvgpr_read_b32 v7, acc203                      // glvw 6 mb 2 tt1 3 r 0
v_accvgpr_read_b32 v8, acc219                      // glvw 6 mb 2 tt1 3 r 0
v_accvgpr_read_b32 v9, acc235                      // glvw 6 mb 2 tt1 3 r 0
v_accvgpr_read_b32 v10, acc251                     // glvw 6 mb 2 tt1 3 r 0
s_nop 1                                            // v_accvgpr read vgpr after write vgpr: 2 wait states
v_accvgpr_write_b32 acc200, v5                     // 
v_accvgpr_write_b32 acc216, v6                     // 
v_accvgpr_write_b32 acc232, v7                     // 
v_accvgpr_write_b32 acc248, v8                     // 
v_accvgpr_write_b32 acc201, v9                     // 
v_accvgpr_write_b32 acc217, v10                    // 
s_mov_b64 s[42:43], 0xFFFFFFFFFFFFFFFF             // to restore all threads active
s_or_saveexec_b64 vcc, s[42:43]                    // all threads active
s_branch label_0168                                // done shifting


/******************************************/
/* shift d0 r=6 mb=3 vw0                  */
/******************************************/
label_0086: // r6 mb3 vw0 
s_mov_b32 s42, 6                                   // 
_v_cmpx_eq_u32 s[42:43], v4, s42                   // is thread in edge glvw region
v_and_b32 v0, 63, v[vgprSerial]                    // permute register between threads
v_lshlrev_b32 v0, 2, v0                            // permute register between threads
v_accvgpr_read_b32 v5, acc46                       // glvw 6 mb 3 tt1 0 r 0
v_accvgpr_read_b32 v6, acc62                       // glvw 6 mb 3 tt1 0 r 0
v_accvgpr_read_b32 v7, acc15                       // glvw 6 mb 3 tt1 0 r 0
v_accvgpr_read_b32 v8, acc31                       // glvw 6 mb 3 tt1 0 r 0
v_accvgpr_read_b32 v9, acc47                       // glvw 6 mb 3 tt1 0 r 0
v_accvgpr_read_b32 v10, acc63                      // glvw 6 mb 3 tt1 0 r 0
s_nop 1                                            // v_accvgpr read vgpr after write vgpr: 2 wait states
v_accvgpr_write_b32 acc12, v5                      // 
v_accvgpr_write_b32 acc28, v6                      // 
v_accvgpr_write_b32 acc44, v7                      // 
v_accvgpr_write_b32 acc60, v8                      // 
v_accvgpr_write_b32 acc13, v9                      // 
v_accvgpr_write_b32 acc29, v10                     // 
v_accvgpr_read_b32 v5, acc110                      // glvw 6 mb 3 tt1 1 r 0
v_accvgpr_read_b32 v6, acc126                      // glvw 6 mb 3 tt1 1 r 0
v_accvgpr_read_b32 v7, acc79                       // glvw 6 mb 3 tt1 1 r 0
v_accvgpr_read_b32 v8, acc95                       // glvw 6 mb 3 tt1 1 r 0
v_accvgpr_read_b32 v9, acc111                      // glvw 6 mb 3 tt1 1 r 0
v_accvgpr_read_b32 v10, acc127                     // glvw 6 mb 3 tt1 1 r 0
s_nop 1                                            // v_accvgpr read vgpr after write vgpr: 2 wait states
v_accvgpr_write_b32 acc76, v5                      // 
v_accvgpr_write_b32 acc92, v6                      // 
v_accvgpr_write_b32 acc108, v7                     // 
v_accvgpr_write_b32 acc124, v8                     // 
v_accvgpr_write_b32 acc77, v9                      // 
v_accvgpr_write_b32 acc93, v10                     // 
v_accvgpr_read_b32 v5, acc174                      // glvw 6 mb 3 tt1 2 r 0
v_accvgpr_read_b32 v6, acc190                      // glvw 6 mb 3 tt1 2 r 0
v_accvgpr_read_b32 v7, acc143                      // glvw 6 mb 3 tt1 2 r 0
v_accvgpr_read_b32 v8, acc159                      // glvw 6 mb 3 tt1 2 r 0
v_accvgpr_read_b32 v9, acc175                      // glvw 6 mb 3 tt1 2 r 0
v_accvgpr_read_b32 v10, acc191                     // glvw 6 mb 3 tt1 2 r 0
s_nop 1                                            // v_accvgpr read vgpr after write vgpr: 2 wait states
v_accvgpr_write_b32 acc140, v5                     // 
v_accvgpr_write_b32 acc156, v6                     // 
v_accvgpr_write_b32 acc172, v7                     // 
v_accvgpr_write_b32 acc188, v8                     // 
v_accvgpr_write_b32 acc141, v9                     // 
v_accvgpr_write_b32 acc157, v10                    // 
v_accvgpr_read_b32 v5, acc238                      // glvw 6 mb 3 tt1 3 r 0
v_accvgpr_read_b32 v6, acc254                      // glvw 6 mb 3 tt1 3 r 0
v_accvgpr_read_b32 v7, acc207                      // glvw 6 mb 3 tt1 3 r 0
v_accvgpr_read_b32 v8, acc223                      // glvw 6 mb 3 tt1 3 r 0
v_accvgpr_read_b32 v9, acc239                      // glvw 6 mb 3 tt1 3 r 0
v_accvgpr_read_b32 v10, acc255                     // glvw 6 mb 3 tt1 3 r 0
s_nop 1                                            // v_accvgpr read vgpr after write vgpr: 2 wait states
v_accvgpr_write_b32 acc204, v5                     // 
v_accvgpr_write_b32 acc220, v6                     // 
v_accvgpr_write_b32 acc236, v7                     // 
v_accvgpr_write_b32 acc252, v8                     // 
v_accvgpr_write_b32 acc205, v9                     // 
v_accvgpr_write_b32 acc221, v10                    // 
s_mov_b64 s[42:43], 0xFFFFFFFFFFFFFFFF             // to restore all threads active
s_or_saveexec_b64 vcc, s[42:43]                    // all threads active
s_branch label_0168                                // done shifting


/******************************************/
/* shift d0 r=7 mb=0 vw0                  */
/******************************************/
label_0089: // r7 mb0 vw0 
s_mov_b32 s42, 0                                   // 
_v_cmpx_eq_u32 s[42:43], v4, s42                   // is thread in edge glvw region
v_and_b32 v0, 63, v[vgprSerial]                    // permute register between threads
v_lshlrev_b32 v0, 2, v0                            // permute register between threads
v_accvgpr_read_b32 v5, acc18                       // glvw 7 mb 0 tt1 0 r 0
v_accvgpr_read_b32 v6, acc34                       // glvw 7 mb 0 tt1 0 r 0
v_accvgpr_read_b32 v7, acc50                       // glvw 7 mb 0 tt1 0 r 0
v_accvgpr_read_b32 v8, acc3                        // glvw 7 mb 0 tt1 0 r 0
v_accvgpr_read_b32 v9, acc19                       // glvw 7 mb 0 tt1 0 r 0
v_accvgpr_read_b32 v10, acc35                      // glvw 7 mb 0 tt1 0 r 0
v_accvgpr_read_b32 v11, acc51                      // glvw 7 mb 0 tt1 0 r 0
s_nop 1                                            // v_accvgpr read vgpr after write vgpr: 2 wait states
v_accvgpr_write_b32 acc0, v5                       // 
v_accvgpr_write_b32 acc16, v6                      // 
v_accvgpr_write_b32 acc32, v7                      // 
v_accvgpr_write_b32 acc48, v8                      // 
v_accvgpr_write_b32 acc1, v9                       // 
v_accvgpr_write_b32 acc17, v10                     // 
v_accvgpr_write_b32 acc33, v11                     // 
v_accvgpr_read_b32 v5, acc82                       // glvw 7 mb 0 tt1 1 r 0
v_accvgpr_read_b32 v6, acc98                       // glvw 7 mb 0 tt1 1 r 0
v_accvgpr_read_b32 v7, acc114                      // glvw 7 mb 0 tt1 1 r 0
v_accvgpr_read_b32 v8, acc67                       // glvw 7 mb 0 tt1 1 r 0
v_accvgpr_read_b32 v9, acc83                       // glvw 7 mb 0 tt1 1 r 0
v_accvgpr_read_b32 v10, acc99                      // glvw 7 mb 0 tt1 1 r 0
v_accvgpr_read_b32 v11, acc115                     // glvw 7 mb 0 tt1 1 r 0
s_nop 1                                            // v_accvgpr read vgpr after write vgpr: 2 wait states
v_accvgpr_write_b32 acc64, v5                      // 
v_accvgpr_write_b32 acc80, v6                      // 
v_accvgpr_write_b32 acc96, v7                      // 
v_accvgpr_write_b32 acc112, v8                     // 
v_accvgpr_write_b32 acc65, v9                      // 
v_accvgpr_write_b32 acc81, v10                     // 
v_accvgpr_write_b32 acc97, v11                     // 
v_accvgpr_read_b32 v5, acc146                      // glvw 7 mb 0 tt1 2 r 0
v_accvgpr_read_b32 v6, acc162                      // glvw 7 mb 0 tt1 2 r 0
v_accvgpr_read_b32 v7, acc178                      // glvw 7 mb 0 tt1 2 r 0
v_accvgpr_read_b32 v8, acc131                      // glvw 7 mb 0 tt1 2 r 0
v_accvgpr_read_b32 v9, acc147                      // glvw 7 mb 0 tt1 2 r 0
v_accvgpr_read_b32 v10, acc163                     // glvw 7 mb 0 tt1 2 r 0
v_accvgpr_read_b32 v11, acc179                     // glvw 7 mb 0 tt1 2 r 0
s_nop 1                                            // v_accvgpr read vgpr after write vgpr: 2 wait states
v_accvgpr_write_b32 acc128, v5                     // 
v_accvgpr_write_b32 acc144, v6                     // 
v_accvgpr_write_b32 acc160, v7                     // 
v_accvgpr_write_b32 acc176, v8                     // 
v_accvgpr_write_b32 acc129, v9                     // 
v_accvgpr_write_b32 acc145, v10                    // 
v_accvgpr_write_b32 acc161, v11                    // 
v_accvgpr_read_b32 v5, acc210                      // glvw 7 mb 0 tt1 3 r 0
v_accvgpr_read_b32 v6, acc226                      // glvw 7 mb 0 tt1 3 r 0
v_accvgpr_read_b32 v7, acc242                      // glvw 7 mb 0 tt1 3 r 0
v_accvgpr_read_b32 v8, acc195                      // glvw 7 mb 0 tt1 3 r 0
v_accvgpr_read_b32 v9, acc211                      // glvw 7 mb 0 tt1 3 r 0
v_accvgpr_read_b32 v10, acc227                     // glvw 7 mb 0 tt1 3 r 0
v_accvgpr_read_b32 v11, acc243                     // glvw 7 mb 0 tt1 3 r 0
s_nop 1                                            // v_accvgpr read vgpr after write vgpr: 2 wait states
v_accvgpr_write_b32 acc192, v5                     // 
v_accvgpr_write_b32 acc208, v6                     // 
v_accvgpr_write_b32 acc224, v7                     // 
v_accvgpr_write_b32 acc240, v8                     // 
v_accvgpr_write_b32 acc193, v9                     // 
v_accvgpr_write_b32 acc209, v10                    // 
v_accvgpr_write_b32 acc225, v11                    // 
s_mov_b64 s[42:43], 0xFFFFFFFFFFFFFFFF             // to restore all threads active
s_or_saveexec_b64 vcc, s[42:43]                    // all threads active
s_branch label_0168                                // done shifting


/******************************************/
/* shift d0 r=7 mb=1 vw0                  */
/******************************************/
label_0091: // r7 mb1 vw0 
s_mov_b32 s42, 2                                   // 
_v_cmpx_eq_u32 s[42:43], v4, s42                   // is thread in edge glvw region
v_and_b32 v0, 63, v[vgprSerial]                    // permute register between threads
v_lshlrev_b32 v0, 2, v0                            // permute register between threads
v_accvgpr_read_b32 v5, acc22                       // glvw 7 mb 1 tt1 0 r 0
v_accvgpr_read_b32 v6, acc38                       // glvw 7 mb 1 tt1 0 r 0
v_accvgpr_read_b32 v7, acc54                       // glvw 7 mb 1 tt1 0 r 0
v_accvgpr_read_b32 v8, acc7                        // glvw 7 mb 1 tt1 0 r 0
v_accvgpr_read_b32 v9, acc23                       // glvw 7 mb 1 tt1 0 r 0
v_accvgpr_read_b32 v10, acc39                      // glvw 7 mb 1 tt1 0 r 0
v_accvgpr_read_b32 v11, acc55                      // glvw 7 mb 1 tt1 0 r 0
s_nop 1                                            // v_accvgpr read vgpr after write vgpr: 2 wait states
v_accvgpr_write_b32 acc4, v5                       // 
v_accvgpr_write_b32 acc20, v6                      // 
v_accvgpr_write_b32 acc36, v7                      // 
v_accvgpr_write_b32 acc52, v8                      // 
v_accvgpr_write_b32 acc5, v9                       // 
v_accvgpr_write_b32 acc21, v10                     // 
v_accvgpr_write_b32 acc37, v11                     // 
v_accvgpr_read_b32 v5, acc86                       // glvw 7 mb 1 tt1 1 r 0
v_accvgpr_read_b32 v6, acc102                      // glvw 7 mb 1 tt1 1 r 0
v_accvgpr_read_b32 v7, acc118                      // glvw 7 mb 1 tt1 1 r 0
v_accvgpr_read_b32 v8, acc71                       // glvw 7 mb 1 tt1 1 r 0
v_accvgpr_read_b32 v9, acc87                       // glvw 7 mb 1 tt1 1 r 0
v_accvgpr_read_b32 v10, acc103                     // glvw 7 mb 1 tt1 1 r 0
v_accvgpr_read_b32 v11, acc119                     // glvw 7 mb 1 tt1 1 r 0
s_nop 1                                            // v_accvgpr read vgpr after write vgpr: 2 wait states
v_accvgpr_write_b32 acc68, v5                      // 
v_accvgpr_write_b32 acc84, v6                      // 
v_accvgpr_write_b32 acc100, v7                     // 
v_accvgpr_write_b32 acc116, v8                     // 
v_accvgpr_write_b32 acc69, v9                      // 
v_accvgpr_write_b32 acc85, v10                     // 
v_accvgpr_write_b32 acc101, v11                    // 
v_accvgpr_read_b32 v5, acc150                      // glvw 7 mb 1 tt1 2 r 0
v_accvgpr_read_b32 v6, acc166                      // glvw 7 mb 1 tt1 2 r 0
v_accvgpr_read_b32 v7, acc182                      // glvw 7 mb 1 tt1 2 r 0
v_accvgpr_read_b32 v8, acc135                      // glvw 7 mb 1 tt1 2 r 0
v_accvgpr_read_b32 v9, acc151                      // glvw 7 mb 1 tt1 2 r 0
v_accvgpr_read_b32 v10, acc167                     // glvw 7 mb 1 tt1 2 r 0
v_accvgpr_read_b32 v11, acc183                     // glvw 7 mb 1 tt1 2 r 0
s_nop 1                                            // v_accvgpr read vgpr after write vgpr: 2 wait states
v_accvgpr_write_b32 acc132, v5                     // 
v_accvgpr_write_b32 acc148, v6                     // 
v_accvgpr_write_b32 acc164, v7                     // 
v_accvgpr_write_b32 acc180, v8                     // 
v_accvgpr_write_b32 acc133, v9                     // 
v_accvgpr_write_b32 acc149, v10                    // 
v_accvgpr_write_b32 acc165, v11                    // 
v_accvgpr_read_b32 v5, acc214                      // glvw 7 mb 1 tt1 3 r 0
v_accvgpr_read_b32 v6, acc230                      // glvw 7 mb 1 tt1 3 r 0
v_accvgpr_read_b32 v7, acc246                      // glvw 7 mb 1 tt1 3 r 0
v_accvgpr_read_b32 v8, acc199                      // glvw 7 mb 1 tt1 3 r 0
v_accvgpr_read_b32 v9, acc215                      // glvw 7 mb 1 tt1 3 r 0
v_accvgpr_read_b32 v10, acc231                     // glvw 7 mb 1 tt1 3 r 0
v_accvgpr_read_b32 v11, acc247                     // glvw 7 mb 1 tt1 3 r 0
s_nop 1                                            // v_accvgpr read vgpr after write vgpr: 2 wait states
v_accvgpr_write_b32 acc196, v5                     // 
v_accvgpr_write_b32 acc212, v6                     // 
v_accvgpr_write_b32 acc228, v7                     // 
v_accvgpr_write_b32 acc244, v8                     // 
v_accvgpr_write_b32 acc197, v9                     // 
v_accvgpr_write_b32 acc213, v10                    // 
v_accvgpr_write_b32 acc229, v11                    // 
s_mov_b64 s[42:43], 0xFFFFFFFFFFFFFFFF             // to restore all threads active
s_or_saveexec_b64 vcc, s[42:43]                    // all threads active
s_branch label_0168                                // done shifting


/******************************************/
/* shift d0 r=7 mb=2 vw0                  */
/******************************************/
label_0093: // r7 mb2 vw0 
s_mov_b32 s42, 4                                   // 
_v_cmpx_eq_u32 s[42:43], v4, s42                   // is thread in edge glvw region
v_and_b32 v0, 63, v[vgprSerial]                    // permute register between threads
v_lshlrev_b32 v0, 2, v0                            // permute register between threads
v_accvgpr_read_b32 v5, acc26                       // glvw 7 mb 2 tt1 0 r 0
v_accvgpr_read_b32 v6, acc42                       // glvw 7 mb 2 tt1 0 r 0
v_accvgpr_read_b32 v7, acc58                       // glvw 7 mb 2 tt1 0 r 0
v_accvgpr_read_b32 v8, acc11                       // glvw 7 mb 2 tt1 0 r 0
v_accvgpr_read_b32 v9, acc27                       // glvw 7 mb 2 tt1 0 r 0
v_accvgpr_read_b32 v10, acc43                      // glvw 7 mb 2 tt1 0 r 0
v_accvgpr_read_b32 v11, acc59                      // glvw 7 mb 2 tt1 0 r 0
s_nop 1                                            // v_accvgpr read vgpr after write vgpr: 2 wait states
v_accvgpr_write_b32 acc8, v5                       // 
v_accvgpr_write_b32 acc24, v6                      // 
v_accvgpr_write_b32 acc40, v7                      // 
v_accvgpr_write_b32 acc56, v8                      // 
v_accvgpr_write_b32 acc9, v9                       // 
v_accvgpr_write_b32 acc25, v10                     // 
v_accvgpr_write_b32 acc41, v11                     // 
v_accvgpr_read_b32 v5, acc90                       // glvw 7 mb 2 tt1 1 r 0
v_accvgpr_read_b32 v6, acc106                      // glvw 7 mb 2 tt1 1 r 0
v_accvgpr_read_b32 v7, acc122                      // glvw 7 mb 2 tt1 1 r 0
v_accvgpr_read_b32 v8, acc75                       // glvw 7 mb 2 tt1 1 r 0
v_accvgpr_read_b32 v9, acc91                       // glvw 7 mb 2 tt1 1 r 0
v_accvgpr_read_b32 v10, acc107                     // glvw 7 mb 2 tt1 1 r 0
v_accvgpr_read_b32 v11, acc123                     // glvw 7 mb 2 tt1 1 r 0
s_nop 1                                            // v_accvgpr read vgpr after write vgpr: 2 wait states
v_accvgpr_write_b32 acc72, v5                      // 
v_accvgpr_write_b32 acc88, v6                      // 
v_accvgpr_write_b32 acc104, v7                     // 
v_accvgpr_write_b32 acc120, v8                     // 
v_accvgpr_write_b32 acc73, v9                      // 
v_accvgpr_write_b32 acc89, v10                     // 
v_accvgpr_write_b32 acc105, v11                    // 
v_accvgpr_read_b32 v5, acc154                      // glvw 7 mb 2 tt1 2 r 0
v_accvgpr_read_b32 v6, acc170                      // glvw 7 mb 2 tt1 2 r 0
v_accvgpr_read_b32 v7, acc186                      // glvw 7 mb 2 tt1 2 r 0
v_accvgpr_read_b32 v8, acc139                      // glvw 7 mb 2 tt1 2 r 0
v_accvgpr_read_b32 v9, acc155                      // glvw 7 mb 2 tt1 2 r 0
v_accvgpr_read_b32 v10, acc171                     // glvw 7 mb 2 tt1 2 r 0
v_accvgpr_read_b32 v11, acc187                     // glvw 7 mb 2 tt1 2 r 0
s_nop 1                                            // v_accvgpr read vgpr after write vgpr: 2 wait states
v_accvgpr_write_b32 acc136, v5                     // 
v_accvgpr_write_b32 acc152, v6                     // 
v_accvgpr_write_b32 acc168, v7                     // 
v_accvgpr_write_b32 acc184, v8                     // 
v_accvgpr_write_b32 acc137, v9                     // 
v_accvgpr_write_b32 acc153, v10                    // 
v_accvgpr_write_b32 acc169, v11                    // 
v_accvgpr_read_b32 v5, acc218                      // glvw 7 mb 2 tt1 3 r 0
v_accvgpr_read_b32 v6, acc234                      // glvw 7 mb 2 tt1 3 r 0
v_accvgpr_read_b32 v7, acc250                      // glvw 7 mb 2 tt1 3 r 0
v_accvgpr_read_b32 v8, acc203                      // glvw 7 mb 2 tt1 3 r 0
v_accvgpr_read_b32 v9, acc219                      // glvw 7 mb 2 tt1 3 r 0
v_accvgpr_read_b32 v10, acc235                     // glvw 7 mb 2 tt1 3 r 0
v_accvgpr_read_b32 v11, acc251                     // glvw 7 mb 2 tt1 3 r 0
s_nop 1                                            // v_accvgpr read vgpr after write vgpr: 2 wait states
v_accvgpr_write_b32 acc200, v5                     // 
v_accvgpr_write_b32 acc216, v6                     // 
v_accvgpr_write_b32 acc232, v7                     // 
v_accvgpr_write_b32 acc248, v8                     // 
v_accvgpr_write_b32 acc201, v9                     // 
v_accvgpr_write_b32 acc217, v10                    // 
v_accvgpr_write_b32 acc233, v11                    // 
s_mov_b64 s[42:43], 0xFFFFFFFFFFFFFFFF             // to restore all threads active
s_or_saveexec_b64 vcc, s[42:43]                    // all threads active
s_branch label_0168                                // done shifting


/******************************************/
/* shift d0 r=7 mb=3 vw0                  */
/******************************************/
label_0095: // r7 mb3 vw0 
s_mov_b32 s42, 6                                   // 
_v_cmpx_eq_u32 s[42:43], v4, s42                   // is thread in edge glvw region
v_and_b32 v0, 63, v[vgprSerial]                    // permute register between threads
v_lshlrev_b32 v0, 2, v0                            // permute register between threads
v_accvgpr_read_b32 v5, acc30                       // glvw 7 mb 3 tt1 0 r 0
v_accvgpr_read_b32 v6, acc46                       // glvw 7 mb 3 tt1 0 r 0
v_accvgpr_read_b32 v7, acc62                       // glvw 7 mb 3 tt1 0 r 0
v_accvgpr_read_b32 v8, acc15                       // glvw 7 mb 3 tt1 0 r 0
v_accvgpr_read_b32 v9, acc31                       // glvw 7 mb 3 tt1 0 r 0
v_accvgpr_read_b32 v10, acc47                      // glvw 7 mb 3 tt1 0 r 0
v_accvgpr_read_b32 v11, acc63                      // glvw 7 mb 3 tt1 0 r 0
s_nop 1                                            // v_accvgpr read vgpr after write vgpr: 2 wait states
v_accvgpr_write_b32 acc12, v5                      // 
v_accvgpr_write_b32 acc28, v6                      // 
v_accvgpr_write_b32 acc44, v7                      // 
v_accvgpr_write_b32 acc60, v8                      // 
v_accvgpr_write_b32 acc13, v9                      // 
v_accvgpr_write_b32 acc29, v10                     // 
v_accvgpr_write_b32 acc45, v11                     // 
v_accvgpr_read_b32 v5, acc94                       // glvw 7 mb 3 tt1 1 r 0
v_accvgpr_read_b32 v6, acc110                      // glvw 7 mb 3 tt1 1 r 0
v_accvgpr_read_b32 v7, acc126                      // glvw 7 mb 3 tt1 1 r 0
v_accvgpr_read_b32 v8, acc79                       // glvw 7 mb 3 tt1 1 r 0
v_accvgpr_read_b32 v9, acc95                       // glvw 7 mb 3 tt1 1 r 0
v_accvgpr_read_b32 v10, acc111                     // glvw 7 mb 3 tt1 1 r 0
v_accvgpr_read_b32 v11, acc127                     // glvw 7 mb 3 tt1 1 r 0
s_nop 1                                            // v_accvgpr read vgpr after write vgpr: 2 wait states
v_accvgpr_write_b32 acc76, v5                      // 
v_accvgpr_write_b32 acc92, v6                      // 
v_accvgpr_write_b32 acc108, v7                     // 
v_accvgpr_write_b32 acc124, v8                     // 
v_accvgpr_write_b32 acc77, v9                      // 
v_accvgpr_write_b32 acc93, v10                     // 
v_accvgpr_write_b32 acc109, v11                    // 
v_accvgpr_read_b32 v5, acc158                      // glvw 7 mb 3 tt1 2 r 0
v_accvgpr_read_b32 v6, acc174                      // glvw 7 mb 3 tt1 2 r 0
v_accvgpr_read_b32 v7, acc190                      // glvw 7 mb 3 tt1 2 r 0
v_accvgpr_read_b32 v8, acc143                      // glvw 7 mb 3 tt1 2 r 0
v_accvgpr_read_b32 v9, acc159                      // glvw 7 mb 3 tt1 2 r 0
v_accvgpr_read_b32 v10, acc175                     // glvw 7 mb 3 tt1 2 r 0
v_accvgpr_read_b32 v11, acc191                     // glvw 7 mb 3 tt1 2 r 0
s_nop 1                                            // v_accvgpr read vgpr after write vgpr: 2 wait states
v_accvgpr_write_b32 acc140, v5                     // 
v_accvgpr_write_b32 acc156, v6                     // 
v_accvgpr_write_b32 acc172, v7                     // 
v_accvgpr_write_b32 acc188, v8                     // 
v_accvgpr_write_b32 acc141, v9                     // 
v_accvgpr_write_b32 acc157, v10                    // 
v_accvgpr_write_b32 acc173, v11                    // 
v_accvgpr_read_b32 v5, acc222                      // glvw 7 mb 3 tt1 3 r 0
v_accvgpr_read_b32 v6, acc238                      // glvw 7 mb 3 tt1 3 r 0
v_accvgpr_read_b32 v7, acc254                      // glvw 7 mb 3 tt1 3 r 0
v_accvgpr_read_b32 v8, acc207                      // glvw 7 mb 3 tt1 3 r 0
v_accvgpr_read_b32 v9, acc223                      // glvw 7 mb 3 tt1 3 r 0
v_accvgpr_read_b32 v10, acc239                     // glvw 7 mb 3 tt1 3 r 0
v_accvgpr_read_b32 v11, acc255                     // glvw 7 mb 3 tt1 3 r 0
s_nop 1                                            // v_accvgpr read vgpr after write vgpr: 2 wait states
v_accvgpr_write_b32 acc204, v5                     // 
v_accvgpr_write_b32 acc220, v6                     // 
v_accvgpr_write_b32 acc236, v7                     // 
v_accvgpr_write_b32 acc252, v8                     // 
v_accvgpr_write_b32 acc205, v9                     // 
v_accvgpr_write_b32 acc221, v10                    // 
v_accvgpr_write_b32 acc237, v11                    // 
s_mov_b64 s[42:43], 0xFFFFFFFFFFFFFFFF             // to restore all threads active
s_or_saveexec_b64 vcc, s[42:43]                    // all threads active
s_branch label_0168                                // done shifting


/******************************************/
/* shift d0 r=8 mb=0 vw0                  */
/******************************************/
label_0098: // r8 mb0 vw0 
s_mov_b32 s42, 0                                   // 
_v_cmpx_eq_u32 s[42:43], v4, s42                   // is thread in edge glvw region
v_and_b32 v0, 63, v[vgprSerial]                    // permute register between threads
v_lshlrev_b32 v0, 2, v0                            // permute register between threads
v_accvgpr_read_b32 v5, acc2                        // glvw 8 mb 0 tt1 0 r 0
v_accvgpr_read_b32 v6, acc18                       // glvw 8 mb 0 tt1 0 r 0
v_accvgpr_read_b32 v7, acc34                       // glvw 8 mb 0 tt1 0 r 0
v_accvgpr_read_b32 v8, acc50                       // glvw 8 mb 0 tt1 0 r 0
v_accvgpr_read_b32 v9, acc3                        // glvw 8 mb 0 tt1 0 r 0
v_accvgpr_read_b32 v10, acc19                      // glvw 8 mb 0 tt1 0 r 0
v_accvgpr_read_b32 v11, acc35                      // glvw 8 mb 0 tt1 0 r 0
v_accvgpr_read_b32 v12, acc51                      // glvw 8 mb 0 tt1 0 r 0
s_nop 1                                            // v_accvgpr read vgpr after write vgpr: 2 wait states
v_accvgpr_write_b32 acc0, v5                       // 
v_accvgpr_write_b32 acc16, v6                      // 
v_accvgpr_write_b32 acc32, v7                      // 
v_accvgpr_write_b32 acc48, v8                      // 
v_accvgpr_write_b32 acc1, v9                       // 
v_accvgpr_write_b32 acc17, v10                     // 
v_accvgpr_write_b32 acc33, v11                     // 
v_accvgpr_write_b32 acc49, v12                     // 
v_accvgpr_read_b32 v5, acc66                       // glvw 8 mb 0 tt1 1 r 0
v_accvgpr_read_b32 v6, acc82                       // glvw 8 mb 0 tt1 1 r 0
v_accvgpr_read_b32 v7, acc98                       // glvw 8 mb 0 tt1 1 r 0
v_accvgpr_read_b32 v8, acc114                      // glvw 8 mb 0 tt1 1 r 0
v_accvgpr_read_b32 v9, acc67                       // glvw 8 mb 0 tt1 1 r 0
v_accvgpr_read_b32 v10, acc83                      // glvw 8 mb 0 tt1 1 r 0
v_accvgpr_read_b32 v11, acc99                      // glvw 8 mb 0 tt1 1 r 0
v_accvgpr_read_b32 v12, acc115                     // glvw 8 mb 0 tt1 1 r 0
s_nop 1                                            // v_accvgpr read vgpr after write vgpr: 2 wait states
v_accvgpr_write_b32 acc64, v5                      // 
v_accvgpr_write_b32 acc80, v6                      // 
v_accvgpr_write_b32 acc96, v7                      // 
v_accvgpr_write_b32 acc112, v8                     // 
v_accvgpr_write_b32 acc65, v9                      // 
v_accvgpr_write_b32 acc81, v10                     // 
v_accvgpr_write_b32 acc97, v11                     // 
v_accvgpr_write_b32 acc113, v12                    // 
v_accvgpr_read_b32 v5, acc130                      // glvw 8 mb 0 tt1 2 r 0
v_accvgpr_read_b32 v6, acc146                      // glvw 8 mb 0 tt1 2 r 0
v_accvgpr_read_b32 v7, acc162                      // glvw 8 mb 0 tt1 2 r 0
v_accvgpr_read_b32 v8, acc178                      // glvw 8 mb 0 tt1 2 r 0
v_accvgpr_read_b32 v9, acc131                      // glvw 8 mb 0 tt1 2 r 0
v_accvgpr_read_b32 v10, acc147                     // glvw 8 mb 0 tt1 2 r 0
v_accvgpr_read_b32 v11, acc163                     // glvw 8 mb 0 tt1 2 r 0
v_accvgpr_read_b32 v12, acc179                     // glvw 8 mb 0 tt1 2 r 0
s_nop 1                                            // v_accvgpr read vgpr after write vgpr: 2 wait states
v_accvgpr_write_b32 acc128, v5                     // 
v_accvgpr_write_b32 acc144, v6                     // 
v_accvgpr_write_b32 acc160, v7                     // 
v_accvgpr_write_b32 acc176, v8                     // 
v_accvgpr_write_b32 acc129, v9                     // 
v_accvgpr_write_b32 acc145, v10                    // 
v_accvgpr_write_b32 acc161, v11                    // 
v_accvgpr_write_b32 acc177, v12                    // 
v_accvgpr_read_b32 v5, acc194                      // glvw 8 mb 0 tt1 3 r 0
v_accvgpr_read_b32 v6, acc210                      // glvw 8 mb 0 tt1 3 r 0
v_accvgpr_read_b32 v7, acc226                      // glvw 8 mb 0 tt1 3 r 0
v_accvgpr_read_b32 v8, acc242                      // glvw 8 mb 0 tt1 3 r 0
v_accvgpr_read_b32 v9, acc195                      // glvw 8 mb 0 tt1 3 r 0
v_accvgpr_read_b32 v10, acc211                     // glvw 8 mb 0 tt1 3 r 0
v_accvgpr_read_b32 v11, acc227                     // glvw 8 mb 0 tt1 3 r 0
v_accvgpr_read_b32 v12, acc243                     // glvw 8 mb 0 tt1 3 r 0
s_nop 1                                            // v_accvgpr read vgpr after write vgpr: 2 wait states
v_accvgpr_write_b32 acc192, v5                     // 
v_accvgpr_write_b32 acc208, v6                     // 
v_accvgpr_write_b32 acc224, v7                     // 
v_accvgpr_write_b32 acc240, v8                     // 
v_accvgpr_write_b32 acc193, v9                     // 
v_accvgpr_write_b32 acc209, v10                    // 
v_accvgpr_write_b32 acc225, v11                    // 
v_accvgpr_write_b32 acc241, v12                    // 
s_mov_b64 s[42:43], 0xFFFFFFFFFFFFFFFF             // to restore all threads active
s_or_saveexec_b64 vcc, s[42:43]                    // all threads active
s_branch label_0168                                // done shifting


/******************************************/
/* shift d0 r=8 mb=1 vw0                  */
/******************************************/
label_0100: // r8 mb1 vw0 
s_mov_b32 s42, 2                                   // 
_v_cmpx_eq_u32 s[42:43], v4, s42                   // is thread in edge glvw region
v_and_b32 v0, 63, v[vgprSerial]                    // permute register between threads
v_lshlrev_b32 v0, 2, v0                            // permute register between threads
v_accvgpr_read_b32 v5, acc6                        // glvw 8 mb 1 tt1 0 r 0
v_accvgpr_read_b32 v6, acc22                       // glvw 8 mb 1 tt1 0 r 0
v_accvgpr_read_b32 v7, acc38                       // glvw 8 mb 1 tt1 0 r 0
v_accvgpr_read_b32 v8, acc54                       // glvw 8 mb 1 tt1 0 r 0
v_accvgpr_read_b32 v9, acc7                        // glvw 8 mb 1 tt1 0 r 0
v_accvgpr_read_b32 v10, acc23                      // glvw 8 mb 1 tt1 0 r 0
v_accvgpr_read_b32 v11, acc39                      // glvw 8 mb 1 tt1 0 r 0
v_accvgpr_read_b32 v12, acc55                      // glvw 8 mb 1 tt1 0 r 0
s_nop 1                                            // v_accvgpr read vgpr after write vgpr: 2 wait states
v_accvgpr_write_b32 acc4, v5                       // 
v_accvgpr_write_b32 acc20, v6                      // 
v_accvgpr_write_b32 acc36, v7                      // 
v_accvgpr_write_b32 acc52, v8                      // 
v_accvgpr_write_b32 acc5, v9                       // 
v_accvgpr_write_b32 acc21, v10                     // 
v_accvgpr_write_b32 acc37, v11                     // 
v_accvgpr_write_b32 acc53, v12                     // 
v_accvgpr_read_b32 v5, acc70                       // glvw 8 mb 1 tt1 1 r 0
v_accvgpr_read_b32 v6, acc86                       // glvw 8 mb 1 tt1 1 r 0
v_accvgpr_read_b32 v7, acc102                      // glvw 8 mb 1 tt1 1 r 0
v_accvgpr_read_b32 v8, acc118                      // glvw 8 mb 1 tt1 1 r 0
v_accvgpr_read_b32 v9, acc71                       // glvw 8 mb 1 tt1 1 r 0
v_accvgpr_read_b32 v10, acc87                      // glvw 8 mb 1 tt1 1 r 0
v_accvgpr_read_b32 v11, acc103                     // glvw 8 mb 1 tt1 1 r 0
v_accvgpr_read_b32 v12, acc119                     // glvw 8 mb 1 tt1 1 r 0
s_nop 1                                            // v_accvgpr read vgpr after write vgpr: 2 wait states
v_accvgpr_write_b32 acc68, v5                      // 
v_accvgpr_write_b32 acc84, v6                      // 
v_accvgpr_write_b32 acc100, v7                     // 
v_accvgpr_write_b32 acc116, v8                     // 
v_accvgpr_write_b32 acc69, v9                      // 
v_accvgpr_write_b32 acc85, v10                     // 
v_accvgpr_write_b32 acc101, v11                    // 
v_accvgpr_write_b32 acc117, v12                    // 
v_accvgpr_read_b32 v5, acc134                      // glvw 8 mb 1 tt1 2 r 0
v_accvgpr_read_b32 v6, acc150                      // glvw 8 mb 1 tt1 2 r 0
v_accvgpr_read_b32 v7, acc166                      // glvw 8 mb 1 tt1 2 r 0
v_accvgpr_read_b32 v8, acc182                      // glvw 8 mb 1 tt1 2 r 0
v_accvgpr_read_b32 v9, acc135                      // glvw 8 mb 1 tt1 2 r 0
v_accvgpr_read_b32 v10, acc151                     // glvw 8 mb 1 tt1 2 r 0
v_accvgpr_read_b32 v11, acc167                     // glvw 8 mb 1 tt1 2 r 0
v_accvgpr_read_b32 v12, acc183                     // glvw 8 mb 1 tt1 2 r 0
s_nop 1                                            // v_accvgpr read vgpr after write vgpr: 2 wait states
v_accvgpr_write_b32 acc132, v5                     // 
v_accvgpr_write_b32 acc148, v6                     // 
v_accvgpr_write_b32 acc164, v7                     // 
v_accvgpr_write_b32 acc180, v8                     // 
v_accvgpr_write_b32 acc133, v9                     // 
v_accvgpr_write_b32 acc149, v10                    // 
v_accvgpr_write_b32 acc165, v11                    // 
v_accvgpr_write_b32 acc181, v12                    // 
v_accvgpr_read_b32 v5, acc198                      // glvw 8 mb 1 tt1 3 r 0
v_accvgpr_read_b32 v6, acc214                      // glvw 8 mb 1 tt1 3 r 0
v_accvgpr_read_b32 v7, acc230                      // glvw 8 mb 1 tt1 3 r 0
v_accvgpr_read_b32 v8, acc246                      // glvw 8 mb 1 tt1 3 r 0
v_accvgpr_read_b32 v9, acc199                      // glvw 8 mb 1 tt1 3 r 0
v_accvgpr_read_b32 v10, acc215                     // glvw 8 mb 1 tt1 3 r 0
v_accvgpr_read_b32 v11, acc231                     // glvw 8 mb 1 tt1 3 r 0
v_accvgpr_read_b32 v12, acc247                     // glvw 8 mb 1 tt1 3 r 0
s_nop 1                                            // v_accvgpr read vgpr after write vgpr: 2 wait states
v_accvgpr_write_b32 acc196, v5                     // 
v_accvgpr_write_b32 acc212, v6                     // 
v_accvgpr_write_b32 acc228, v7                     // 
v_accvgpr_write_b32 acc244, v8                     // 
v_accvgpr_write_b32 acc197, v9                     // 
v_accvgpr_write_b32 acc213, v10                    // 
v_accvgpr_write_b32 acc229, v11                    // 
v_accvgpr_write_b32 acc245, v12                    // 
s_mov_b64 s[42:43], 0xFFFFFFFFFFFFFFFF             // to restore all threads active
s_or_saveexec_b64 vcc, s[42:43]                    // all threads active
s_branch label_0168                                // done shifting


/******************************************/
/* shift d0 r=8 mb=2 vw0                  */
/******************************************/
label_0102: // r8 mb2 vw0 
s_mov_b32 s42, 4                                   // 
_v_cmpx_eq_u32 s[42:43], v4, s42                   // is thread in edge glvw region
v_and_b32 v0, 63, v[vgprSerial]                    // permute register between threads
v_lshlrev_b32 v0, 2, v0                            // permute register between threads
v_accvgpr_read_b32 v5, acc10                       // glvw 8 mb 2 tt1 0 r 0
v_accvgpr_read_b32 v6, acc26                       // glvw 8 mb 2 tt1 0 r 0
v_accvgpr_read_b32 v7, acc42                       // glvw 8 mb 2 tt1 0 r 0
v_accvgpr_read_b32 v8, acc58                       // glvw 8 mb 2 tt1 0 r 0
v_accvgpr_read_b32 v9, acc11                       // glvw 8 mb 2 tt1 0 r 0
v_accvgpr_read_b32 v10, acc27                      // glvw 8 mb 2 tt1 0 r 0
v_accvgpr_read_b32 v11, acc43                      // glvw 8 mb 2 tt1 0 r 0
v_accvgpr_read_b32 v12, acc59                      // glvw 8 mb 2 tt1 0 r 0
s_nop 1                                            // v_accvgpr read vgpr after write vgpr: 2 wait states
v_accvgpr_write_b32 acc8, v5                       // 
v_accvgpr_write_b32 acc24, v6                      // 
v_accvgpr_write_b32 acc40, v7                      // 
v_accvgpr_write_b32 acc56, v8                      // 
v_accvgpr_write_b32 acc9, v9                       // 
v_accvgpr_write_b32 acc25, v10                     // 
v_accvgpr_write_b32 acc41, v11                     // 
v_accvgpr_write_b32 acc57, v12                     // 
v_accvgpr_read_b32 v5, acc74                       // glvw 8 mb 2 tt1 1 r 0
v_accvgpr_read_b32 v6, acc90                       // glvw 8 mb 2 tt1 1 r 0
v_accvgpr_read_b32 v7, acc106                      // glvw 8 mb 2 tt1 1 r 0
v_accvgpr_read_b32 v8, acc122                      // glvw 8 mb 2 tt1 1 r 0
v_accvgpr_read_b32 v9, acc75                       // glvw 8 mb 2 tt1 1 r 0
v_accvgpr_read_b32 v10, acc91                      // glvw 8 mb 2 tt1 1 r 0
v_accvgpr_read_b32 v11, acc107                     // glvw 8 mb 2 tt1 1 r 0
v_accvgpr_read_b32 v12, acc123                     // glvw 8 mb 2 tt1 1 r 0
s_nop 1                                            // v_accvgpr read vgpr after write vgpr: 2 wait states
v_accvgpr_write_b32 acc72, v5                      // 
v_accvgpr_write_b32 acc88, v6                      // 
v_accvgpr_write_b32 acc104, v7                     // 
v_accvgpr_write_b32 acc120, v8                     // 
v_accvgpr_write_b32 acc73, v9                      // 
v_accvgpr_write_b32 acc89, v10                     // 
v_accvgpr_write_b32 acc105, v11                    // 
v_accvgpr_write_b32 acc121, v12                    // 
v_accvgpr_read_b32 v5, acc138                      // glvw 8 mb 2 tt1 2 r 0
v_accvgpr_read_b32 v6, acc154                      // glvw 8 mb 2 tt1 2 r 0
v_accvgpr_read_b32 v7, acc170                      // glvw 8 mb 2 tt1 2 r 0
v_accvgpr_read_b32 v8, acc186                      // glvw 8 mb 2 tt1 2 r 0
v_accvgpr_read_b32 v9, acc139                      // glvw 8 mb 2 tt1 2 r 0
v_accvgpr_read_b32 v10, acc155                     // glvw 8 mb 2 tt1 2 r 0
v_accvgpr_read_b32 v11, acc171                     // glvw 8 mb 2 tt1 2 r 0
v_accvgpr_read_b32 v12, acc187                     // glvw 8 mb 2 tt1 2 r 0
s_nop 1                                            // v_accvgpr read vgpr after write vgpr: 2 wait states
v_accvgpr_write_b32 acc136, v5                     // 
v_accvgpr_write_b32 acc152, v6                     // 
v_accvgpr_write_b32 acc168, v7                     // 
v_accvgpr_write_b32 acc184, v8                     // 
v_accvgpr_write_b32 acc137, v9                     // 
v_accvgpr_write_b32 acc153, v10                    // 
v_accvgpr_write_b32 acc169, v11                    // 
v_accvgpr_write_b32 acc185, v12                    // 
v_accvgpr_read_b32 v5, acc202                      // glvw 8 mb 2 tt1 3 r 0
v_accvgpr_read_b32 v6, acc218                      // glvw 8 mb 2 tt1 3 r 0
v_accvgpr_read_b32 v7, acc234                      // glvw 8 mb 2 tt1 3 r 0
v_accvgpr_read_b32 v8, acc250                      // glvw 8 mb 2 tt1 3 r 0
v_accvgpr_read_b32 v9, acc203                      // glvw 8 mb 2 tt1 3 r 0
v_accvgpr_read_b32 v10, acc219                     // glvw 8 mb 2 tt1 3 r 0
v_accvgpr_read_b32 v11, acc235                     // glvw 8 mb 2 tt1 3 r 0
v_accvgpr_read_b32 v12, acc251                     // glvw 8 mb 2 tt1 3 r 0
s_nop 1                                            // v_accvgpr read vgpr after write vgpr: 2 wait states
v_accvgpr_write_b32 acc200, v5                     // 
v_accvgpr_write_b32 acc216, v6                     // 
v_accvgpr_write_b32 acc232, v7                     // 
v_accvgpr_write_b32 acc248, v8                     // 
v_accvgpr_write_b32 acc201, v9                     // 
v_accvgpr_write_b32 acc217, v10                    // 
v_accvgpr_write_b32 acc233, v11                    // 
v_accvgpr_write_b32 acc249, v12                    // 
s_mov_b64 s[42:43], 0xFFFFFFFFFFFFFFFF             // to restore all threads active
s_or_saveexec_b64 vcc, s[42:43]                    // all threads active
s_branch label_0168                                // done shifting


/******************************************/
/* shift d0 r=8 mb=3 vw0                  */
/******************************************/
label_0104: // r8 mb3 vw0 
s_mov_b32 s42, 6                                   // 
_v_cmpx_eq_u32 s[42:43], v4, s42                   // is thread in edge glvw region
v_and_b32 v0, 63, v[vgprSerial]                    // permute register between threads
v_lshlrev_b32 v0, 2, v0                            // permute register between threads
v_accvgpr_read_b32 v5, acc14                       // glvw 8 mb 3 tt1 0 r 0
v_accvgpr_read_b32 v6, acc30                       // glvw 8 mb 3 tt1 0 r 0
v_accvgpr_read_b32 v7, acc46                       // glvw 8 mb 3 tt1 0 r 0
v_accvgpr_read_b32 v8, acc62                       // glvw 8 mb 3 tt1 0 r 0
v_accvgpr_read_b32 v9, acc15                       // glvw 8 mb 3 tt1 0 r 0
v_accvgpr_read_b32 v10, acc31                      // glvw 8 mb 3 tt1 0 r 0
v_accvgpr_read_b32 v11, acc47                      // glvw 8 mb 3 tt1 0 r 0
v_accvgpr_read_b32 v12, acc63                      // glvw 8 mb 3 tt1 0 r 0
s_nop 1                                            // v_accvgpr read vgpr after write vgpr: 2 wait states
v_accvgpr_write_b32 acc12, v5                      // 
v_accvgpr_write_b32 acc28, v6                      // 
v_accvgpr_write_b32 acc44, v7                      // 
v_accvgpr_write_b32 acc60, v8                      // 
v_accvgpr_write_b32 acc13, v9                      // 
v_accvgpr_write_b32 acc29, v10                     // 
v_accvgpr_write_b32 acc45, v11                     // 
v_accvgpr_write_b32 acc61, v12                     // 
v_accvgpr_read_b32 v5, acc78                       // glvw 8 mb 3 tt1 1 r 0
v_accvgpr_read_b32 v6, acc94                       // glvw 8 mb 3 tt1 1 r 0
v_accvgpr_read_b32 v7, acc110                      // glvw 8 mb 3 tt1 1 r 0
v_accvgpr_read_b32 v8, acc126                      // glvw 8 mb 3 tt1 1 r 0
v_accvgpr_read_b32 v9, acc79                       // glvw 8 mb 3 tt1 1 r 0
v_accvgpr_read_b32 v10, acc95                      // glvw 8 mb 3 tt1 1 r 0
v_accvgpr_read_b32 v11, acc111                     // glvw 8 mb 3 tt1 1 r 0
v_accvgpr_read_b32 v12, acc127                     // glvw 8 mb 3 tt1 1 r 0
s_nop 1                                            // v_accvgpr read vgpr after write vgpr: 2 wait states
v_accvgpr_write_b32 acc76, v5                      // 
v_accvgpr_write_b32 acc92, v6                      // 
v_accvgpr_write_b32 acc108, v7                     // 
v_accvgpr_write_b32 acc124, v8                     // 
v_accvgpr_write_b32 acc77, v9                      // 
v_accvgpr_write_b32 acc93, v10                     // 
v_accvgpr_write_b32 acc109, v11                    // 
v_accvgpr_write_b32 acc125, v12                    // 
v_accvgpr_read_b32 v5, acc142                      // glvw 8 mb 3 tt1 2 r 0
v_accvgpr_read_b32 v6, acc158                      // glvw 8 mb 3 tt1 2 r 0
v_accvgpr_read_b32 v7, acc174                      // glvw 8 mb 3 tt1 2 r 0
v_accvgpr_read_b32 v8, acc190                      // glvw 8 mb 3 tt1 2 r 0
v_accvgpr_read_b32 v9, acc143                      // glvw 8 mb 3 tt1 2 r 0
v_accvgpr_read_b32 v10, acc159                     // glvw 8 mb 3 tt1 2 r 0
v_accvgpr_read_b32 v11, acc175                     // glvw 8 mb 3 tt1 2 r 0
v_accvgpr_read_b32 v12, acc191                     // glvw 8 mb 3 tt1 2 r 0
s_nop 1                                            // v_accvgpr read vgpr after write vgpr: 2 wait states
v_accvgpr_write_b32 acc140, v5                     // 
v_accvgpr_write_b32 acc156, v6                     // 
v_accvgpr_write_b32 acc172, v7                     // 
v_accvgpr_write_b32 acc188, v8                     // 
v_accvgpr_write_b32 acc141, v9                     // 
v_accvgpr_write_b32 acc157, v10                    // 
v_accvgpr_write_b32 acc173, v11                    // 
v_accvgpr_write_b32 acc189, v12                    // 
v_accvgpr_read_b32 v5, acc206                      // glvw 8 mb 3 tt1 3 r 0
v_accvgpr_read_b32 v6, acc222                      // glvw 8 mb 3 tt1 3 r 0
v_accvgpr_read_b32 v7, acc238                      // glvw 8 mb 3 tt1 3 r 0
v_accvgpr_read_b32 v8, acc254                      // glvw 8 mb 3 tt1 3 r 0
v_accvgpr_read_b32 v9, acc207                      // glvw 8 mb 3 tt1 3 r 0
v_accvgpr_read_b32 v10, acc223                     // glvw 8 mb 3 tt1 3 r 0
v_accvgpr_read_b32 v11, acc239                     // glvw 8 mb 3 tt1 3 r 0
v_accvgpr_read_b32 v12, acc255                     // glvw 8 mb 3 tt1 3 r 0
s_nop 1                                            // v_accvgpr read vgpr after write vgpr: 2 wait states
v_accvgpr_write_b32 acc204, v5                     // 
v_accvgpr_write_b32 acc220, v6                     // 
v_accvgpr_write_b32 acc236, v7                     // 
v_accvgpr_write_b32 acc252, v8                     // 
v_accvgpr_write_b32 acc205, v9                     // 
v_accvgpr_write_b32 acc221, v10                    // 
v_accvgpr_write_b32 acc237, v11                    // 
v_accvgpr_write_b32 acc253, v12                    // 
s_mov_b64 s[42:43], 0xFFFFFFFFFFFFFFFF             // to restore all threads active
s_or_saveexec_b64 vcc, s[42:43]                    // all threads active
s_branch label_0168                                // done shifting


/******************************************/
/* shift d0 r=9 mb=0 vw0                  */
/******************************************/
label_0107: // r9 mb0 vw0 
s_mov_b32 s42, 0                                   // 
_v_cmpx_eq_u32 s[42:43], v4, s42                   // is thread in edge glvw region
v_and_b32 v0, 63, v[vgprSerial]                    // permute register between threads
v_lshlrev_b32 v0, 2, v0                            // permute register between threads
v_accvgpr_read_b32 v5, acc49                       // glvw 9 mb 0 tt1 0 r 0
v_accvgpr_read_b32 v6, acc2                        // glvw 9 mb 0 tt1 0 r 0
v_accvgpr_read_b32 v7, acc18                       // glvw 9 mb 0 tt1 0 r 0
v_accvgpr_read_b32 v8, acc34                       // glvw 9 mb 0 tt1 0 r 0
v_accvgpr_read_b32 v9, acc50                       // glvw 9 mb 0 tt1 0 r 0
v_accvgpr_read_b32 v10, acc3                       // glvw 9 mb 0 tt1 0 r 0
v_accvgpr_read_b32 v11, acc19                      // glvw 9 mb 0 tt1 0 r 0
v_accvgpr_read_b32 v12, acc35                      // glvw 9 mb 0 tt1 0 r 0
v_accvgpr_read_b32 v13, acc51                      // glvw 9 mb 0 tt1 0 r 0
s_nop 1                                            // v_accvgpr read vgpr after write vgpr: 2 wait states
v_accvgpr_write_b32 acc0, v5                       // 
v_accvgpr_write_b32 acc16, v6                      // 
v_accvgpr_write_b32 acc32, v7                      // 
v_accvgpr_write_b32 acc48, v8                      // 
v_accvgpr_write_b32 acc1, v9                       // 
v_accvgpr_write_b32 acc17, v10                     // 
v_accvgpr_write_b32 acc33, v11                     // 
v_accvgpr_write_b32 acc49, v12                     // 
v_accvgpr_write_b32 acc2, v13                      // 
v_accvgpr_read_b32 v5, acc113                      // glvw 9 mb 0 tt1 1 r 0
v_accvgpr_read_b32 v6, acc66                       // glvw 9 mb 0 tt1 1 r 0
v_accvgpr_read_b32 v7, acc82                       // glvw 9 mb 0 tt1 1 r 0
v_accvgpr_read_b32 v8, acc98                       // glvw 9 mb 0 tt1 1 r 0
v_accvgpr_read_b32 v9, acc114                      // glvw 9 mb 0 tt1 1 r 0
v_accvgpr_read_b32 v10, acc67                      // glvw 9 mb 0 tt1 1 r 0
v_accvgpr_read_b32 v11, acc83                      // glvw 9 mb 0 tt1 1 r 0
v_accvgpr_read_b32 v12, acc99                      // glvw 9 mb 0 tt1 1 r 0
v_accvgpr_read_b32 v13, acc115                     // glvw 9 mb 0 tt1 1 r 0
s_nop 1                                            // v_accvgpr read vgpr after write vgpr: 2 wait states
v_accvgpr_write_b32 acc64, v5                      // 
v_accvgpr_write_b32 acc80, v6                      // 
v_accvgpr_write_b32 acc96, v7                      // 
v_accvgpr_write_b32 acc112, v8                     // 
v_accvgpr_write_b32 acc65, v9                      // 
v_accvgpr_write_b32 acc81, v10                     // 
v_accvgpr_write_b32 acc97, v11                     // 
v_accvgpr_write_b32 acc113, v12                    // 
v_accvgpr_write_b32 acc66, v13                     // 
v_accvgpr_read_b32 v5, acc177                      // glvw 9 mb 0 tt1 2 r 0
v_accvgpr_read_b32 v6, acc130                      // glvw 9 mb 0 tt1 2 r 0
v_accvgpr_read_b32 v7, acc146                      // glvw 9 mb 0 tt1 2 r 0
v_accvgpr_read_b32 v8, acc162                      // glvw 9 mb 0 tt1 2 r 0
v_accvgpr_read_b32 v9, acc178                      // glvw 9 mb 0 tt1 2 r 0
v_accvgpr_read_b32 v10, acc131                     // glvw 9 mb 0 tt1 2 r 0
v_accvgpr_read_b32 v11, acc147                     // glvw 9 mb 0 tt1 2 r 0
v_accvgpr_read_b32 v12, acc163                     // glvw 9 mb 0 tt1 2 r 0
v_accvgpr_read_b32 v13, acc179                     // glvw 9 mb 0 tt1 2 r 0
s_nop 1                                            // v_accvgpr read vgpr after write vgpr: 2 wait states
v_accvgpr_write_b32 acc128, v5                     // 
v_accvgpr_write_b32 acc144, v6                     // 
v_accvgpr_write_b32 acc160, v7                     // 
v_accvgpr_write_b32 acc176, v8                     // 
v_accvgpr_write_b32 acc129, v9                     // 
v_accvgpr_write_b32 acc145, v10                    // 
v_accvgpr_write_b32 acc161, v11                    // 
v_accvgpr_write_b32 acc177, v12                    // 
v_accvgpr_write_b32 acc130, v13                    // 
v_accvgpr_read_b32 v5, acc241                      // glvw 9 mb 0 tt1 3 r 0
v_accvgpr_read_b32 v6, acc194                      // glvw 9 mb 0 tt1 3 r 0
v_accvgpr_read_b32 v7, acc210                      // glvw 9 mb 0 tt1 3 r 0
v_accvgpr_read_b32 v8, acc226                      // glvw 9 mb 0 tt1 3 r 0
v_accvgpr_read_b32 v9, acc242                      // glvw 9 mb 0 tt1 3 r 0
v_accvgpr_read_b32 v10, acc195                     // glvw 9 mb 0 tt1 3 r 0
v_accvgpr_read_b32 v11, acc211                     // glvw 9 mb 0 tt1 3 r 0
v_accvgpr_read_b32 v12, acc227                     // glvw 9 mb 0 tt1 3 r 0
v_accvgpr_read_b32 v13, acc243                     // glvw 9 mb 0 tt1 3 r 0
s_nop 1                                            // v_accvgpr read vgpr after write vgpr: 2 wait states
v_accvgpr_write_b32 acc192, v5                     // 
v_accvgpr_write_b32 acc208, v6                     // 
v_accvgpr_write_b32 acc224, v7                     // 
v_accvgpr_write_b32 acc240, v8                     // 
v_accvgpr_write_b32 acc193, v9                     // 
v_accvgpr_write_b32 acc209, v10                    // 
v_accvgpr_write_b32 acc225, v11                    // 
v_accvgpr_write_b32 acc241, v12                    // 
v_accvgpr_write_b32 acc194, v13                    // 
s_mov_b64 s[42:43], 0xFFFFFFFFFFFFFFFF             // to restore all threads active
s_or_saveexec_b64 vcc, s[42:43]                    // all threads active
s_branch label_0168                                // done shifting


/******************************************/
/* shift d0 r=9 mb=1 vw0                  */
/******************************************/
label_0109: // r9 mb1 vw0 
s_mov_b32 s42, 2                                   // 
_v_cmpx_eq_u32 s[42:43], v4, s42                   // is thread in edge glvw region
v_and_b32 v0, 63, v[vgprSerial]                    // permute register between threads
v_lshlrev_b32 v0, 2, v0                            // permute register between threads
v_accvgpr_read_b32 v5, acc53                       // glvw 9 mb 1 tt1 0 r 0
v_accvgpr_read_b32 v6, acc6                        // glvw 9 mb 1 tt1 0 r 0
v_accvgpr_read_b32 v7, acc22                       // glvw 9 mb 1 tt1 0 r 0
v_accvgpr_read_b32 v8, acc38                       // glvw 9 mb 1 tt1 0 r 0
v_accvgpr_read_b32 v9, acc54                       // glvw 9 mb 1 tt1 0 r 0
v_accvgpr_read_b32 v10, acc7                       // glvw 9 mb 1 tt1 0 r 0
v_accvgpr_read_b32 v11, acc23                      // glvw 9 mb 1 tt1 0 r 0
v_accvgpr_read_b32 v12, acc39                      // glvw 9 mb 1 tt1 0 r 0
v_accvgpr_read_b32 v13, acc55                      // glvw 9 mb 1 tt1 0 r 0
s_nop 1                                            // v_accvgpr read vgpr after write vgpr: 2 wait states
v_accvgpr_write_b32 acc4, v5                       // 
v_accvgpr_write_b32 acc20, v6                      // 
v_accvgpr_write_b32 acc36, v7                      // 
v_accvgpr_write_b32 acc52, v8                      // 
v_accvgpr_write_b32 acc5, v9                       // 
v_accvgpr_write_b32 acc21, v10                     // 
v_accvgpr_write_b32 acc37, v11                     // 
v_accvgpr_write_b32 acc53, v12                     // 
v_accvgpr_write_b32 acc6, v13                      // 
v_accvgpr_read_b32 v5, acc117                      // glvw 9 mb 1 tt1 1 r 0
v_accvgpr_read_b32 v6, acc70                       // glvw 9 mb 1 tt1 1 r 0
v_accvgpr_read_b32 v7, acc86                       // glvw 9 mb 1 tt1 1 r 0
v_accvgpr_read_b32 v8, acc102                      // glvw 9 mb 1 tt1 1 r 0
v_accvgpr_read_b32 v9, acc118                      // glvw 9 mb 1 tt1 1 r 0
v_accvgpr_read_b32 v10, acc71                      // glvw 9 mb 1 tt1 1 r 0
v_accvgpr_read_b32 v11, acc87                      // glvw 9 mb 1 tt1 1 r 0
v_accvgpr_read_b32 v12, acc103                     // glvw 9 mb 1 tt1 1 r 0
v_accvgpr_read_b32 v13, acc119                     // glvw 9 mb 1 tt1 1 r 0
s_nop 1                                            // v_accvgpr read vgpr after write vgpr: 2 wait states
v_accvgpr_write_b32 acc68, v5                      // 
v_accvgpr_write_b32 acc84, v6                      // 
v_accvgpr_write_b32 acc100, v7                     // 
v_accvgpr_write_b32 acc116, v8                     // 
v_accvgpr_write_b32 acc69, v9                      // 
v_accvgpr_write_b32 acc85, v10                     // 
v_accvgpr_write_b32 acc101, v11                    // 
v_accvgpr_write_b32 acc117, v12                    // 
v_accvgpr_write_b32 acc70, v13                     // 
v_accvgpr_read_b32 v5, acc181                      // glvw 9 mb 1 tt1 2 r 0
v_accvgpr_read_b32 v6, acc134                      // glvw 9 mb 1 tt1 2 r 0
v_accvgpr_read_b32 v7, acc150                      // glvw 9 mb 1 tt1 2 r 0
v_accvgpr_read_b32 v8, acc166                      // glvw 9 mb 1 tt1 2 r 0
v_accvgpr_read_b32 v9, acc182                      // glvw 9 mb 1 tt1 2 r 0
v_accvgpr_read_b32 v10, acc135                     // glvw 9 mb 1 tt1 2 r 0
v_accvgpr_read_b32 v11, acc151                     // glvw 9 mb 1 tt1 2 r 0
v_accvgpr_read_b32 v12, acc167                     // glvw 9 mb 1 tt1 2 r 0
v_accvgpr_read_b32 v13, acc183                     // glvw 9 mb 1 tt1 2 r 0
s_nop 1                                            // v_accvgpr read vgpr after write vgpr: 2 wait states
v_accvgpr_write_b32 acc132, v5                     // 
v_accvgpr_write_b32 acc148, v6                     // 
v_accvgpr_write_b32 acc164, v7                     // 
v_accvgpr_write_b32 acc180, v8                     // 
v_accvgpr_write_b32 acc133, v9                     // 
v_accvgpr_write_b32 acc149, v10                    // 
v_accvgpr_write_b32 acc165, v11                    // 
v_accvgpr_write_b32 acc181, v12                    // 
v_accvgpr_write_b32 acc134, v13                    // 
v_accvgpr_read_b32 v5, acc245                      // glvw 9 mb 1 tt1 3 r 0
v_accvgpr_read_b32 v6, acc198                      // glvw 9 mb 1 tt1 3 r 0
v_accvgpr_read_b32 v7, acc214                      // glvw 9 mb 1 tt1 3 r 0
v_accvgpr_read_b32 v8, acc230                      // glvw 9 mb 1 tt1 3 r 0
v_accvgpr_read_b32 v9, acc246                      // glvw 9 mb 1 tt1 3 r 0
v_accvgpr_read_b32 v10, acc199                     // glvw 9 mb 1 tt1 3 r 0
v_accvgpr_read_b32 v11, acc215                     // glvw 9 mb 1 tt1 3 r 0
v_accvgpr_read_b32 v12, acc231                     // glvw 9 mb 1 tt1 3 r 0
v_accvgpr_read_b32 v13, acc247                     // glvw 9 mb 1 tt1 3 r 0
s_nop 1                                            // v_accvgpr read vgpr after write vgpr: 2 wait states
v_accvgpr_write_b32 acc196, v5                     // 
v_accvgpr_write_b32 acc212, v6                     // 
v_accvgpr_write_b32 acc228, v7                     // 
v_accvgpr_write_b32 acc244, v8                     // 
v_accvgpr_write_b32 acc197, v9                     // 
v_accvgpr_write_b32 acc213, v10                    // 
v_accvgpr_write_b32 acc229, v11                    // 
v_accvgpr_write_b32 acc245, v12                    // 
v_accvgpr_write_b32 acc198, v13                    // 
s_mov_b64 s[42:43], 0xFFFFFFFFFFFFFFFF             // to restore all threads active
s_or_saveexec_b64 vcc, s[42:43]                    // all threads active
s_branch label_0168                                // done shifting


/******************************************/
/* shift d0 r=9 mb=2 vw0                  */
/******************************************/
label_0111: // r9 mb2 vw0 
s_mov_b32 s42, 4                                   // 
_v_cmpx_eq_u32 s[42:43], v4, s42                   // is thread in edge glvw region
v_and_b32 v0, 63, v[vgprSerial]                    // permute register between threads
v_lshlrev_b32 v0, 2, v0                            // permute register between threads
v_accvgpr_read_b32 v5, acc57                       // glvw 9 mb 2 tt1 0 r 0
v_accvgpr_read_b32 v6, acc10                       // glvw 9 mb 2 tt1 0 r 0
v_accvgpr_read_b32 v7, acc26                       // glvw 9 mb 2 tt1 0 r 0
v_accvgpr_read_b32 v8, acc42                       // glvw 9 mb 2 tt1 0 r 0
v_accvgpr_read_b32 v9, acc58                       // glvw 9 mb 2 tt1 0 r 0
v_accvgpr_read_b32 v10, acc11                      // glvw 9 mb 2 tt1 0 r 0
v_accvgpr_read_b32 v11, acc27                      // glvw 9 mb 2 tt1 0 r 0
v_accvgpr_read_b32 v12, acc43                      // glvw 9 mb 2 tt1 0 r 0
v_accvgpr_read_b32 v13, acc59                      // glvw 9 mb 2 tt1 0 r 0
s_nop 1                                            // v_accvgpr read vgpr after write vgpr: 2 wait states
v_accvgpr_write_b32 acc8, v5                       // 
v_accvgpr_write_b32 acc24, v6                      // 
v_accvgpr_write_b32 acc40, v7                      // 
v_accvgpr_write_b32 acc56, v8                      // 
v_accvgpr_write_b32 acc9, v9                       // 
v_accvgpr_write_b32 acc25, v10                     // 
v_accvgpr_write_b32 acc41, v11                     // 
v_accvgpr_write_b32 acc57, v12                     // 
v_accvgpr_write_b32 acc10, v13                     // 
v_accvgpr_read_b32 v5, acc121                      // glvw 9 mb 2 tt1 1 r 0
v_accvgpr_read_b32 v6, acc74                       // glvw 9 mb 2 tt1 1 r 0
v_accvgpr_read_b32 v7, acc90                       // glvw 9 mb 2 tt1 1 r 0
v_accvgpr_read_b32 v8, acc106                      // glvw 9 mb 2 tt1 1 r 0
v_accvgpr_read_b32 v9, acc122                      // glvw 9 mb 2 tt1 1 r 0
v_accvgpr_read_b32 v10, acc75                      // glvw 9 mb 2 tt1 1 r 0
v_accvgpr_read_b32 v11, acc91                      // glvw 9 mb 2 tt1 1 r 0
v_accvgpr_read_b32 v12, acc107                     // glvw 9 mb 2 tt1 1 r 0
v_accvgpr_read_b32 v13, acc123                     // glvw 9 mb 2 tt1 1 r 0
s_nop 1                                            // v_accvgpr read vgpr after write vgpr: 2 wait states
v_accvgpr_write_b32 acc72, v5                      // 
v_accvgpr_write_b32 acc88, v6                      // 
v_accvgpr_write_b32 acc104, v7                     // 
v_accvgpr_write_b32 acc120, v8                     // 
v_accvgpr_write_b32 acc73, v9                      // 
v_accvgpr_write_b32 acc89, v10                     // 
v_accvgpr_write_b32 acc105, v11                    // 
v_accvgpr_write_b32 acc121, v12                    // 
v_accvgpr_write_b32 acc74, v13                     // 
v_accvgpr_read_b32 v5, acc185                      // glvw 9 mb 2 tt1 2 r 0
v_accvgpr_read_b32 v6, acc138                      // glvw 9 mb 2 tt1 2 r 0
v_accvgpr_read_b32 v7, acc154                      // glvw 9 mb 2 tt1 2 r 0
v_accvgpr_read_b32 v8, acc170                      // glvw 9 mb 2 tt1 2 r 0
v_accvgpr_read_b32 v9, acc186                      // glvw 9 mb 2 tt1 2 r 0
v_accvgpr_read_b32 v10, acc139                     // glvw 9 mb 2 tt1 2 r 0
v_accvgpr_read_b32 v11, acc155                     // glvw 9 mb 2 tt1 2 r 0
v_accvgpr_read_b32 v12, acc171                     // glvw 9 mb 2 tt1 2 r 0
v_accvgpr_read_b32 v13, acc187                     // glvw 9 mb 2 tt1 2 r 0
s_nop 1                                            // v_accvgpr read vgpr after write vgpr: 2 wait states
v_accvgpr_write_b32 acc136, v5                     // 
v_accvgpr_write_b32 acc152, v6                     // 
v_accvgpr_write_b32 acc168, v7                     // 
v_accvgpr_write_b32 acc184, v8                     // 
v_accvgpr_write_b32 acc137, v9                     // 
v_accvgpr_write_b32 acc153, v10                    // 
v_accvgpr_write_b32 acc169, v11                    // 
v_accvgpr_write_b32 acc185, v12                    // 
v_accvgpr_write_b32 acc138, v13                    // 
v_accvgpr_read_b32 v5, acc249                      // glvw 9 mb 2 tt1 3 r 0
v_accvgpr_read_b32 v6, acc202                      // glvw 9 mb 2 tt1 3 r 0
v_accvgpr_read_b32 v7, acc218                      // glvw 9 mb 2 tt1 3 r 0
v_accvgpr_read_b32 v8, acc234                      // glvw 9 mb 2 tt1 3 r 0
v_accvgpr_read_b32 v9, acc250                      // glvw 9 mb 2 tt1 3 r 0
v_accvgpr_read_b32 v10, acc203                     // glvw 9 mb 2 tt1 3 r 0
v_accvgpr_read_b32 v11, acc219                     // glvw 9 mb 2 tt1 3 r 0
v_accvgpr_read_b32 v12, acc235                     // glvw 9 mb 2 tt1 3 r 0
v_accvgpr_read_b32 v13, acc251                     // glvw 9 mb 2 tt1 3 r 0
s_nop 1                                            // v_accvgpr read vgpr after write vgpr: 2 wait states
v_accvgpr_write_b32 acc200, v5                     // 
v_accvgpr_write_b32 acc216, v6                     // 
v_accvgpr_write_b32 acc232, v7                     // 
v_accvgpr_write_b32 acc248, v8                     // 
v_accvgpr_write_b32 acc201, v9                     // 
v_accvgpr_write_b32 acc217, v10                    // 
v_accvgpr_write_b32 acc233, v11                    // 
v_accvgpr_write_b32 acc249, v12                    // 
v_accvgpr_write_b32 acc202, v13                    // 
s_mov_b64 s[42:43], 0xFFFFFFFFFFFFFFFF             // to restore all threads active
s_or_saveexec_b64 vcc, s[42:43]                    // all threads active
s_branch label_0168                                // done shifting


/******************************************/
/* shift d0 r=9 mb=3 vw0                  */
/******************************************/
label_0113: // r9 mb3 vw0 
s_mov_b32 s42, 6                                   // 
_v_cmpx_eq_u32 s[42:43], v4, s42                   // is thread in edge glvw region
v_and_b32 v0, 63, v[vgprSerial]                    // permute register between threads
v_lshlrev_b32 v0, 2, v0                            // permute register between threads
v_accvgpr_read_b32 v5, acc61                       // glvw 9 mb 3 tt1 0 r 0
v_accvgpr_read_b32 v6, acc14                       // glvw 9 mb 3 tt1 0 r 0
v_accvgpr_read_b32 v7, acc30                       // glvw 9 mb 3 tt1 0 r 0
v_accvgpr_read_b32 v8, acc46                       // glvw 9 mb 3 tt1 0 r 0
v_accvgpr_read_b32 v9, acc62                       // glvw 9 mb 3 tt1 0 r 0
v_accvgpr_read_b32 v10, acc15                      // glvw 9 mb 3 tt1 0 r 0
v_accvgpr_read_b32 v11, acc31                      // glvw 9 mb 3 tt1 0 r 0
v_accvgpr_read_b32 v12, acc47                      // glvw 9 mb 3 tt1 0 r 0
v_accvgpr_read_b32 v13, acc63                      // glvw 9 mb 3 tt1 0 r 0
s_nop 1                                            // v_accvgpr read vgpr after write vgpr: 2 wait states
v_accvgpr_write_b32 acc12, v5                      // 
v_accvgpr_write_b32 acc28, v6                      // 
v_accvgpr_write_b32 acc44, v7                      // 
v_accvgpr_write_b32 acc60, v8                      // 
v_accvgpr_write_b32 acc13, v9                      // 
v_accvgpr_write_b32 acc29, v10                     // 
v_accvgpr_write_b32 acc45, v11                     // 
v_accvgpr_write_b32 acc61, v12                     // 
v_accvgpr_write_b32 acc14, v13                     // 
v_accvgpr_read_b32 v5, acc125                      // glvw 9 mb 3 tt1 1 r 0
v_accvgpr_read_b32 v6, acc78                       // glvw 9 mb 3 tt1 1 r 0
v_accvgpr_read_b32 v7, acc94                       // glvw 9 mb 3 tt1 1 r 0
v_accvgpr_read_b32 v8, acc110                      // glvw 9 mb 3 tt1 1 r 0
v_accvgpr_read_b32 v9, acc126                      // glvw 9 mb 3 tt1 1 r 0
v_accvgpr_read_b32 v10, acc79                      // glvw 9 mb 3 tt1 1 r 0
v_accvgpr_read_b32 v11, acc95                      // glvw 9 mb 3 tt1 1 r 0
v_accvgpr_read_b32 v12, acc111                     // glvw 9 mb 3 tt1 1 r 0
v_accvgpr_read_b32 v13, acc127                     // glvw 9 mb 3 tt1 1 r 0
s_nop 1                                            // v_accvgpr read vgpr after write vgpr: 2 wait states
v_accvgpr_write_b32 acc76, v5                      // 
v_accvgpr_write_b32 acc92, v6                      // 
v_accvgpr_write_b32 acc108, v7                     // 
v_accvgpr_write_b32 acc124, v8                     // 
v_accvgpr_write_b32 acc77, v9                      // 
v_accvgpr_write_b32 acc93, v10                     // 
v_accvgpr_write_b32 acc109, v11                    // 
v_accvgpr_write_b32 acc125, v12                    // 
v_accvgpr_write_b32 acc78, v13                     // 
v_accvgpr_read_b32 v5, acc189                      // glvw 9 mb 3 tt1 2 r 0
v_accvgpr_read_b32 v6, acc142                      // glvw 9 mb 3 tt1 2 r 0
v_accvgpr_read_b32 v7, acc158                      // glvw 9 mb 3 tt1 2 r 0
v_accvgpr_read_b32 v8, acc174                      // glvw 9 mb 3 tt1 2 r 0
v_accvgpr_read_b32 v9, acc190                      // glvw 9 mb 3 tt1 2 r 0
v_accvgpr_read_b32 v10, acc143                     // glvw 9 mb 3 tt1 2 r 0
v_accvgpr_read_b32 v11, acc159                     // glvw 9 mb 3 tt1 2 r 0
v_accvgpr_read_b32 v12, acc175                     // glvw 9 mb 3 tt1 2 r 0
v_accvgpr_read_b32 v13, acc191                     // glvw 9 mb 3 tt1 2 r 0
s_nop 1                                            // v_accvgpr read vgpr after write vgpr: 2 wait states
v_accvgpr_write_b32 acc140, v5                     // 
v_accvgpr_write_b32 acc156, v6                     // 
v_accvgpr_write_b32 acc172, v7                     // 
v_accvgpr_write_b32 acc188, v8                     // 
v_accvgpr_write_b32 acc141, v9                     // 
v_accvgpr_write_b32 acc157, v10                    // 
v_accvgpr_write_b32 acc173, v11                    // 
v_accvgpr_write_b32 acc189, v12                    // 
v_accvgpr_write_b32 acc142, v13                    // 
v_accvgpr_read_b32 v5, acc253                      // glvw 9 mb 3 tt1 3 r 0
v_accvgpr_read_b32 v6, acc206                      // glvw 9 mb 3 tt1 3 r 0
v_accvgpr_read_b32 v7, acc222                      // glvw 9 mb 3 tt1 3 r 0
v_accvgpr_read_b32 v8, acc238                      // glvw 9 mb 3 tt1 3 r 0
v_accvgpr_read_b32 v9, acc254                      // glvw 9 mb 3 tt1 3 r 0
v_accvgpr_read_b32 v10, acc207                     // glvw 9 mb 3 tt1 3 r 0
v_accvgpr_read_b32 v11, acc223                     // glvw 9 mb 3 tt1 3 r 0
v_accvgpr_read_b32 v12, acc239                     // glvw 9 mb 3 tt1 3 r 0
v_accvgpr_read_b32 v13, acc255                     // glvw 9 mb 3 tt1 3 r 0
s_nop 1                                            // v_accvgpr read vgpr after write vgpr: 2 wait states
v_accvgpr_write_b32 acc204, v5                     // 
v_accvgpr_write_b32 acc220, v6                     // 
v_accvgpr_write_b32 acc236, v7                     // 
v_accvgpr_write_b32 acc252, v8                     // 
v_accvgpr_write_b32 acc205, v9                     // 
v_accvgpr_write_b32 acc221, v10                    // 
v_accvgpr_write_b32 acc237, v11                    // 
v_accvgpr_write_b32 acc253, v12                    // 
v_accvgpr_write_b32 acc206, v13                    // 
s_mov_b64 s[42:43], 0xFFFFFFFFFFFFFFFF             // to restore all threads active
s_or_saveexec_b64 vcc, s[42:43]                    // all threads active
s_branch label_0168                                // done shifting


/******************************************/
/* shift d0 r=10 mb=0 vw0                 */
/******************************************/
label_0116: // r10 mb0 vw0 
s_mov_b32 s42, 0                                   // 
_v_cmpx_eq_u32 s[42:43], v4, s42                   // is thread in edge glvw region
v_and_b32 v0, 63, v[vgprSerial]                    // permute register between threads
v_lshlrev_b32 v0, 2, v0                            // permute register between threads
v_accvgpr_read_b32 v5, acc33                       // glvw 10 mb 0 tt1 0 r 0
v_accvgpr_read_b32 v6, acc49                       // glvw 10 mb 0 tt1 0 r 0
v_accvgpr_read_b32 v7, acc2                        // glvw 10 mb 0 tt1 0 r 0
v_accvgpr_read_b32 v8, acc18                       // glvw 10 mb 0 tt1 0 r 0
v_accvgpr_read_b32 v9, acc34                       // glvw 10 mb 0 tt1 0 r 0
v_accvgpr_read_b32 v10, acc50                      // glvw 10 mb 0 tt1 0 r 0
v_accvgpr_read_b32 v11, acc3                       // glvw 10 mb 0 tt1 0 r 0
v_accvgpr_read_b32 v12, acc19                      // glvw 10 mb 0 tt1 0 r 0
v_accvgpr_read_b32 v13, acc35                      // glvw 10 mb 0 tt1 0 r 0
v_accvgpr_read_b32 v14, acc51                      // glvw 10 mb 0 tt1 0 r 0
s_nop 1                                            // v_accvgpr read vgpr after write vgpr: 2 wait states
v_accvgpr_write_b32 acc0, v5                       // 
v_accvgpr_write_b32 acc16, v6                      // 
v_accvgpr_write_b32 acc32, v7                      // 
v_accvgpr_write_b32 acc48, v8                      // 
v_accvgpr_write_b32 acc1, v9                       // 
v_accvgpr_write_b32 acc17, v10                     // 
v_accvgpr_write_b32 acc33, v11                     // 
v_accvgpr_write_b32 acc49, v12                     // 
v_accvgpr_write_b32 acc2, v13                      // 
v_accvgpr_write_b32 acc18, v14                     // 
v_accvgpr_read_b32 v5, acc97                       // glvw 10 mb 0 tt1 1 r 0
v_accvgpr_read_b32 v6, acc113                      // glvw 10 mb 0 tt1 1 r 0
v_accvgpr_read_b32 v7, acc66                       // glvw 10 mb 0 tt1 1 r 0
v_accvgpr_read_b32 v8, acc82                       // glvw 10 mb 0 tt1 1 r 0
v_accvgpr_read_b32 v9, acc98                       // glvw 10 mb 0 tt1 1 r 0
v_accvgpr_read_b32 v10, acc114                     // glvw 10 mb 0 tt1 1 r 0
v_accvgpr_read_b32 v11, acc67                      // glvw 10 mb 0 tt1 1 r 0
v_accvgpr_read_b32 v12, acc83                      // glvw 10 mb 0 tt1 1 r 0
v_accvgpr_read_b32 v13, acc99                      // glvw 10 mb 0 tt1 1 r 0
v_accvgpr_read_b32 v14, acc115                     // glvw 10 mb 0 tt1 1 r 0
s_nop 1                                            // v_accvgpr read vgpr after write vgpr: 2 wait states
v_accvgpr_write_b32 acc64, v5                      // 
v_accvgpr_write_b32 acc80, v6                      // 
v_accvgpr_write_b32 acc96, v7                      // 
v_accvgpr_write_b32 acc112, v8                     // 
v_accvgpr_write_b32 acc65, v9                      // 
v_accvgpr_write_b32 acc81, v10                     // 
v_accvgpr_write_b32 acc97, v11                     // 
v_accvgpr_write_b32 acc113, v12                    // 
v_accvgpr_write_b32 acc66, v13                     // 
v_accvgpr_write_b32 acc82, v14                     // 
v_accvgpr_read_b32 v5, acc161                      // glvw 10 mb 0 tt1 2 r 0
v_accvgpr_read_b32 v6, acc177                      // glvw 10 mb 0 tt1 2 r 0
v_accvgpr_read_b32 v7, acc130                      // glvw 10 mb 0 tt1 2 r 0
v_accvgpr_read_b32 v8, acc146                      // glvw 10 mb 0 tt1 2 r 0
v_accvgpr_read_b32 v9, acc162                      // glvw 10 mb 0 tt1 2 r 0
v_accvgpr_read_b32 v10, acc178                     // glvw 10 mb 0 tt1 2 r 0
v_accvgpr_read_b32 v11, acc131                     // glvw 10 mb 0 tt1 2 r 0
v_accvgpr_read_b32 v12, acc147                     // glvw 10 mb 0 tt1 2 r 0
v_accvgpr_read_b32 v13, acc163                     // glvw 10 mb 0 tt1 2 r 0
v_accvgpr_read_b32 v14, acc179                     // glvw 10 mb 0 tt1 2 r 0
s_nop 1                                            // v_accvgpr read vgpr after write vgpr: 2 wait states
v_accvgpr_write_b32 acc128, v5                     // 
v_accvgpr_write_b32 acc144, v6                     // 
v_accvgpr_write_b32 acc160, v7                     // 
v_accvgpr_write_b32 acc176, v8                     // 
v_accvgpr_write_b32 acc129, v9                     // 
v_accvgpr_write_b32 acc145, v10                    // 
v_accvgpr_write_b32 acc161, v11                    // 
v_accvgpr_write_b32 acc177, v12                    // 
v_accvgpr_write_b32 acc130, v13                    // 
v_accvgpr_write_b32 acc146, v14                    // 
v_accvgpr_read_b32 v5, acc225                      // glvw 10 mb 0 tt1 3 r 0
v_accvgpr_read_b32 v6, acc241                      // glvw 10 mb 0 tt1 3 r 0
v_accvgpr_read_b32 v7, acc194                      // glvw 10 mb 0 tt1 3 r 0
v_accvgpr_read_b32 v8, acc210                      // glvw 10 mb 0 tt1 3 r 0
v_accvgpr_read_b32 v9, acc226                      // glvw 10 mb 0 tt1 3 r 0
v_accvgpr_read_b32 v10, acc242                     // glvw 10 mb 0 tt1 3 r 0
v_accvgpr_read_b32 v11, acc195                     // glvw 10 mb 0 tt1 3 r 0
v_accvgpr_read_b32 v12, acc211                     // glvw 10 mb 0 tt1 3 r 0
v_accvgpr_read_b32 v13, acc227                     // glvw 10 mb 0 tt1 3 r 0
v_accvgpr_read_b32 v14, acc243                     // glvw 10 mb 0 tt1 3 r 0
s_nop 1                                            // v_accvgpr read vgpr after write vgpr: 2 wait states
v_accvgpr_write_b32 acc192, v5                     // 
v_accvgpr_write_b32 acc208, v6                     // 
v_accvgpr_write_b32 acc224, v7                     // 
v_accvgpr_write_b32 acc240, v8                     // 
v_accvgpr_write_b32 acc193, v9                     // 
v_accvgpr_write_b32 acc209, v10                    // 
v_accvgpr_write_b32 acc225, v11                    // 
v_accvgpr_write_b32 acc241, v12                    // 
v_accvgpr_write_b32 acc194, v13                    // 
v_accvgpr_write_b32 acc210, v14                    // 
s_mov_b64 s[42:43], 0xFFFFFFFFFFFFFFFF             // to restore all threads active
s_or_saveexec_b64 vcc, s[42:43]                    // all threads active
s_branch label_0168                                // done shifting


/******************************************/
/* shift d0 r=10 mb=1 vw0                 */
/******************************************/
label_0118: // r10 mb1 vw0 
s_mov_b32 s42, 2                                   // 
_v_cmpx_eq_u32 s[42:43], v4, s42                   // is thread in edge glvw region
v_and_b32 v0, 63, v[vgprSerial]                    // permute register between threads
v_lshlrev_b32 v0, 2, v0                            // permute register between threads
v_accvgpr_read_b32 v5, acc37                       // glvw 10 mb 1 tt1 0 r 0
v_accvgpr_read_b32 v6, acc53                       // glvw 10 mb 1 tt1 0 r 0
v_accvgpr_read_b32 v7, acc6                        // glvw 10 mb 1 tt1 0 r 0
v_accvgpr_read_b32 v8, acc22                       // glvw 10 mb 1 tt1 0 r 0
v_accvgpr_read_b32 v9, acc38                       // glvw 10 mb 1 tt1 0 r 0
v_accvgpr_read_b32 v10, acc54                      // glvw 10 mb 1 tt1 0 r 0
v_accvgpr_read_b32 v11, acc7                       // glvw 10 mb 1 tt1 0 r 0
v_accvgpr_read_b32 v12, acc23                      // glvw 10 mb 1 tt1 0 r 0
v_accvgpr_read_b32 v13, acc39                      // glvw 10 mb 1 tt1 0 r 0
v_accvgpr_read_b32 v14, acc55                      // glvw 10 mb 1 tt1 0 r 0
s_nop 1                                            // v_accvgpr read vgpr after write vgpr: 2 wait states
v_accvgpr_write_b32 acc4, v5                       // 
v_accvgpr_write_b32 acc20, v6                      // 
v_accvgpr_write_b32 acc36, v7                      // 
v_accvgpr_write_b32 acc52, v8                      // 
v_accvgpr_write_b32 acc5, v9                       // 
v_accvgpr_write_b32 acc21, v10                     // 
v_accvgpr_write_b32 acc37, v11                     // 
v_accvgpr_write_b32 acc53, v12                     // 
v_accvgpr_write_b32 acc6, v13                      // 
v_accvgpr_write_b32 acc22, v14                     // 
v_accvgpr_read_b32 v5, acc101                      // glvw 10 mb 1 tt1 1 r 0
v_accvgpr_read_b32 v6, acc117                      // glvw 10 mb 1 tt1 1 r 0
v_accvgpr_read_b32 v7, acc70                       // glvw 10 mb 1 tt1 1 r 0
v_accvgpr_read_b32 v8, acc86                       // glvw 10 mb 1 tt1 1 r 0
v_accvgpr_read_b32 v9, acc102                      // glvw 10 mb 1 tt1 1 r 0
v_accvgpr_read_b32 v10, acc118                     // glvw 10 mb 1 tt1 1 r 0
v_accvgpr_read_b32 v11, acc71                      // glvw 10 mb 1 tt1 1 r 0
v_accvgpr_read_b32 v12, acc87                      // glvw 10 mb 1 tt1 1 r 0
v_accvgpr_read_b32 v13, acc103                     // glvw 10 mb 1 tt1 1 r 0
v_accvgpr_read_b32 v14, acc119                     // glvw 10 mb 1 tt1 1 r 0
s_nop 1                                            // v_accvgpr read vgpr after write vgpr: 2 wait states
v_accvgpr_write_b32 acc68, v5                      // 
v_accvgpr_write_b32 acc84, v6                      // 
v_accvgpr_write_b32 acc100, v7                     // 
v_accvgpr_write_b32 acc116, v8                     // 
v_accvgpr_write_b32 acc69, v9                      // 
v_accvgpr_write_b32 acc85, v10                     // 
v_accvgpr_write_b32 acc101, v11                    // 
v_accvgpr_write_b32 acc117, v12                    // 
v_accvgpr_write_b32 acc70, v13                     // 
v_accvgpr_write_b32 acc86, v14                     // 
v_accvgpr_read_b32 v5, acc165                      // glvw 10 mb 1 tt1 2 r 0
v_accvgpr_read_b32 v6, acc181                      // glvw 10 mb 1 tt1 2 r 0
v_accvgpr_read_b32 v7, acc134                      // glvw 10 mb 1 tt1 2 r 0
v_accvgpr_read_b32 v8, acc150                      // glvw 10 mb 1 tt1 2 r 0
v_accvgpr_read_b32 v9, acc166                      // glvw 10 mb 1 tt1 2 r 0
v_accvgpr_read_b32 v10, acc182                     // glvw 10 mb 1 tt1 2 r 0
v_accvgpr_read_b32 v11, acc135                     // glvw 10 mb 1 tt1 2 r 0
v_accvgpr_read_b32 v12, acc151                     // glvw 10 mb 1 tt1 2 r 0
v_accvgpr_read_b32 v13, acc167                     // glvw 10 mb 1 tt1 2 r 0
v_accvgpr_read_b32 v14, acc183                     // glvw 10 mb 1 tt1 2 r 0
s_nop 1                                            // v_accvgpr read vgpr after write vgpr: 2 wait states
v_accvgpr_write_b32 acc132, v5                     // 
v_accvgpr_write_b32 acc148, v6                     // 
v_accvgpr_write_b32 acc164, v7                     // 
v_accvgpr_write_b32 acc180, v8                     // 
v_accvgpr_write_b32 acc133, v9                     // 
v_accvgpr_write_b32 acc149, v10                    // 
v_accvgpr_write_b32 acc165, v11                    // 
v_accvgpr_write_b32 acc181, v12                    // 
v_accvgpr_write_b32 acc134, v13                    // 
v_accvgpr_write_b32 acc150, v14                    // 
v_accvgpr_read_b32 v5, acc229                      // glvw 10 mb 1 tt1 3 r 0
v_accvgpr_read_b32 v6, acc245                      // glvw 10 mb 1 tt1 3 r 0
v_accvgpr_read_b32 v7, acc198                      // glvw 10 mb 1 tt1 3 r 0
v_accvgpr_read_b32 v8, acc214                      // glvw 10 mb 1 tt1 3 r 0
v_accvgpr_read_b32 v9, acc230                      // glvw 10 mb 1 tt1 3 r 0
v_accvgpr_read_b32 v10, acc246                     // glvw 10 mb 1 tt1 3 r 0
v_accvgpr_read_b32 v11, acc199                     // glvw 10 mb 1 tt1 3 r 0
v_accvgpr_read_b32 v12, acc215                     // glvw 10 mb 1 tt1 3 r 0
v_accvgpr_read_b32 v13, acc231                     // glvw 10 mb 1 tt1 3 r 0
v_accvgpr_read_b32 v14, acc247                     // glvw 10 mb 1 tt1 3 r 0
s_nop 1                                            // v_accvgpr read vgpr after write vgpr: 2 wait states
v_accvgpr_write_b32 acc196, v5                     // 
v_accvgpr_write_b32 acc212, v6                     // 
v_accvgpr_write_b32 acc228, v7                     // 
v_accvgpr_write_b32 acc244, v8                     // 
v_accvgpr_write_b32 acc197, v9                     // 
v_accvgpr_write_b32 acc213, v10                    // 
v_accvgpr_write_b32 acc229, v11                    // 
v_accvgpr_write_b32 acc245, v12                    // 
v_accvgpr_write_b32 acc198, v13                    // 
v_accvgpr_write_b32 acc214, v14                    // 
s_mov_b64 s[42:43], 0xFFFFFFFFFFFFFFFF             // to restore all threads active
s_or_saveexec_b64 vcc, s[42:43]                    // all threads active
s_branch label_0168                                // done shifting


/******************************************/
/* shift d0 r=10 mb=2 vw0                 */
/******************************************/
label_0120: // r10 mb2 vw0 
s_mov_b32 s42, 4                                   // 
_v_cmpx_eq_u32 s[42:43], v4, s42                   // is thread in edge glvw region
v_and_b32 v0, 63, v[vgprSerial]                    // permute register between threads
v_lshlrev_b32 v0, 2, v0                            // permute register between threads
v_accvgpr_read_b32 v5, acc41                       // glvw 10 mb 2 tt1 0 r 0
v_accvgpr_read_b32 v6, acc57                       // glvw 10 mb 2 tt1 0 r 0
v_accvgpr_read_b32 v7, acc10                       // glvw 10 mb 2 tt1 0 r 0
v_accvgpr_read_b32 v8, acc26                       // glvw 10 mb 2 tt1 0 r 0
v_accvgpr_read_b32 v9, acc42                       // glvw 10 mb 2 tt1 0 r 0
v_accvgpr_read_b32 v10, acc58                      // glvw 10 mb 2 tt1 0 r 0
v_accvgpr_read_b32 v11, acc11                      // glvw 10 mb 2 tt1 0 r 0
v_accvgpr_read_b32 v12, acc27                      // glvw 10 mb 2 tt1 0 r 0
v_accvgpr_read_b32 v13, acc43                      // glvw 10 mb 2 tt1 0 r 0
v_accvgpr_read_b32 v14, acc59                      // glvw 10 mb 2 tt1 0 r 0
s_nop 1                                            // v_accvgpr read vgpr after write vgpr: 2 wait states
v_accvgpr_write_b32 acc8, v5                       // 
v_accvgpr_write_b32 acc24, v6                      // 
v_accvgpr_write_b32 acc40, v7                      // 
v_accvgpr_write_b32 acc56, v8                      // 
v_accvgpr_write_b32 acc9, v9                       // 
v_accvgpr_write_b32 acc25, v10                     // 
v_accvgpr_write_b32 acc41, v11                     // 
v_accvgpr_write_b32 acc57, v12                     // 
v_accvgpr_write_b32 acc10, v13                     // 
v_accvgpr_write_b32 acc26, v14                     // 
v_accvgpr_read_b32 v5, acc105                      // glvw 10 mb 2 tt1 1 r 0
v_accvgpr_read_b32 v6, acc121                      // glvw 10 mb 2 tt1 1 r 0
v_accvgpr_read_b32 v7, acc74                       // glvw 10 mb 2 tt1 1 r 0
v_accvgpr_read_b32 v8, acc90                       // glvw 10 mb 2 tt1 1 r 0
v_accvgpr_read_b32 v9, acc106                      // glvw 10 mb 2 tt1 1 r 0
v_accvgpr_read_b32 v10, acc122                     // glvw 10 mb 2 tt1 1 r 0
v_accvgpr_read_b32 v11, acc75                      // glvw 10 mb 2 tt1 1 r 0
v_accvgpr_read_b32 v12, acc91                      // glvw 10 mb 2 tt1 1 r 0
v_accvgpr_read_b32 v13, acc107                     // glvw 10 mb 2 tt1 1 r 0
v_accvgpr_read_b32 v14, acc123                     // glvw 10 mb 2 tt1 1 r 0
s_nop 1                                            // v_accvgpr read vgpr after write vgpr: 2 wait states
v_accvgpr_write_b32 acc72, v5                      // 
v_accvgpr_write_b32 acc88, v6                      // 
v_accvgpr_write_b32 acc104, v7                     // 
v_accvgpr_write_b32 acc120, v8                     // 
v_accvgpr_write_b32 acc73, v9                      // 
v_accvgpr_write_b32 acc89, v10                     // 
v_accvgpr_write_b32 acc105, v11                    // 
v_accvgpr_write_b32 acc121, v12                    // 
v_accvgpr_write_b32 acc74, v13                     // 
v_accvgpr_write_b32 acc90, v14                     // 
v_accvgpr_read_b32 v5, acc169                      // glvw 10 mb 2 tt1 2 r 0
v_accvgpr_read_b32 v6, acc185                      // glvw 10 mb 2 tt1 2 r 0
v_accvgpr_read_b32 v7, acc138                      // glvw 10 mb 2 tt1 2 r 0
v_accvgpr_read_b32 v8, acc154                      // glvw 10 mb 2 tt1 2 r 0
v_accvgpr_read_b32 v9, acc170                      // glvw 10 mb 2 tt1 2 r 0
v_accvgpr_read_b32 v10, acc186                     // glvw 10 mb 2 tt1 2 r 0
v_accvgpr_read_b32 v11, acc139                     // glvw 10 mb 2 tt1 2 r 0
v_accvgpr_read_b32 v12, acc155                     // glvw 10 mb 2 tt1 2 r 0
v_accvgpr_read_b32 v13, acc171                     // glvw 10 mb 2 tt1 2 r 0
v_accvgpr_read_b32 v14, acc187                     // glvw 10 mb 2 tt1 2 r 0
s_nop 1                                            // v_accvgpr read vgpr after write vgpr: 2 wait states
v_accvgpr_write_b32 acc136, v5                     // 
v_accvgpr_write_b32 acc152, v6                     // 
v_accvgpr_write_b32 acc168, v7                     // 
v_accvgpr_write_b32 acc184, v8                     // 
v_accvgpr_write_b32 acc137, v9                     // 
v_accvgpr_write_b32 acc153, v10                    // 
v_accvgpr_write_b32 acc169, v11                    // 
v_accvgpr_write_b32 acc185, v12                    // 
v_accvgpr_write_b32 acc138, v13                    // 
v_accvgpr_write_b32 acc154, v14                    // 
v_accvgpr_read_b32 v5, acc233                      // glvw 10 mb 2 tt1 3 r 0
v_accvgpr_read_b32 v6, acc249                      // glvw 10 mb 2 tt1 3 r 0
v_accvgpr_read_b32 v7, acc202                      // glvw 10 mb 2 tt1 3 r 0
v_accvgpr_read_b32 v8, acc218                      // glvw 10 mb 2 tt1 3 r 0
v_accvgpr_read_b32 v9, acc234                      // glvw 10 mb 2 tt1 3 r 0
v_accvgpr_read_b32 v10, acc250                     // glvw 10 mb 2 tt1 3 r 0
v_accvgpr_read_b32 v11, acc203                     // glvw 10 mb 2 tt1 3 r 0
v_accvgpr_read_b32 v12, acc219                     // glvw 10 mb 2 tt1 3 r 0
v_accvgpr_read_b32 v13, acc235                     // glvw 10 mb 2 tt1 3 r 0
v_accvgpr_read_b32 v14, acc251                     // glvw 10 mb 2 tt1 3 r 0
s_nop 1                                            // v_accvgpr read vgpr after write vgpr: 2 wait states
v_accvgpr_write_b32 acc200, v5                     // 
v_accvgpr_write_b32 acc216, v6                     // 
v_accvgpr_write_b32 acc232, v7                     // 
v_accvgpr_write_b32 acc248, v8                     // 
v_accvgpr_write_b32 acc201, v9                     // 
v_accvgpr_write_b32 acc217, v10                    // 
v_accvgpr_write_b32 acc233, v11                    // 
v_accvgpr_write_b32 acc249, v12                    // 
v_accvgpr_write_b32 acc202, v13                    // 
v_accvgpr_write_b32 acc218, v14                    // 
s_mov_b64 s[42:43], 0xFFFFFFFFFFFFFFFF             // to restore all threads active
s_or_saveexec_b64 vcc, s[42:43]                    // all threads active
s_branch label_0168                                // done shifting


/******************************************/
/* shift d0 r=10 mb=3 vw0                 */
/******************************************/
label_0122: // r10 mb3 vw0 
s_mov_b32 s42, 6                                   // 
_v_cmpx_eq_u32 s[42:43], v4, s42                   // is thread in edge glvw region
v_and_b32 v0, 63, v[vgprSerial]                    // permute register between threads
v_lshlrev_b32 v0, 2, v0                            // permute register between threads
v_accvgpr_read_b32 v5, acc45                       // glvw 10 mb 3 tt1 0 r 0
v_accvgpr_read_b32 v6, acc61                       // glvw 10 mb 3 tt1 0 r 0
v_accvgpr_read_b32 v7, acc14                       // glvw 10 mb 3 tt1 0 r 0
v_accvgpr_read_b32 v8, acc30                       // glvw 10 mb 3 tt1 0 r 0
v_accvgpr_read_b32 v9, acc46                       // glvw 10 mb 3 tt1 0 r 0
v_accvgpr_read_b32 v10, acc62                      // glvw 10 mb 3 tt1 0 r 0
v_accvgpr_read_b32 v11, acc15                      // glvw 10 mb 3 tt1 0 r 0
v_accvgpr_read_b32 v12, acc31                      // glvw 10 mb 3 tt1 0 r 0
v_accvgpr_read_b32 v13, acc47                      // glvw 10 mb 3 tt1 0 r 0
v_accvgpr_read_b32 v14, acc63                      // glvw 10 mb 3 tt1 0 r 0
s_nop 1                                            // v_accvgpr read vgpr after write vgpr: 2 wait states
v_accvgpr_write_b32 acc12, v5                      // 
v_accvgpr_write_b32 acc28, v6                      // 
v_accvgpr_write_b32 acc44, v7                      // 
v_accvgpr_write_b32 acc60, v8                      // 
v_accvgpr_write_b32 acc13, v9                      // 
v_accvgpr_write_b32 acc29, v10                     // 
v_accvgpr_write_b32 acc45, v11                     // 
v_accvgpr_write_b32 acc61, v12                     // 
v_accvgpr_write_b32 acc14, v13                     // 
v_accvgpr_write_b32 acc30, v14                     // 
v_accvgpr_read_b32 v5, acc109                      // glvw 10 mb 3 tt1 1 r 0
v_accvgpr_read_b32 v6, acc125                      // glvw 10 mb 3 tt1 1 r 0
v_accvgpr_read_b32 v7, acc78                       // glvw 10 mb 3 tt1 1 r 0
v_accvgpr_read_b32 v8, acc94                       // glvw 10 mb 3 tt1 1 r 0
v_accvgpr_read_b32 v9, acc110                      // glvw 10 mb 3 tt1 1 r 0
v_accvgpr_read_b32 v10, acc126                     // glvw 10 mb 3 tt1 1 r 0
v_accvgpr_read_b32 v11, acc79                      // glvw 10 mb 3 tt1 1 r 0
v_accvgpr_read_b32 v12, acc95                      // glvw 10 mb 3 tt1 1 r 0
v_accvgpr_read_b32 v13, acc111                     // glvw 10 mb 3 tt1 1 r 0
v_accvgpr_read_b32 v14, acc127                     // glvw 10 mb 3 tt1 1 r 0
s_nop 1                                            // v_accvgpr read vgpr after write vgpr: 2 wait states
v_accvgpr_write_b32 acc76, v5                      // 
v_accvgpr_write_b32 acc92, v6                      // 
v_accvgpr_write_b32 acc108, v7                     // 
v_accvgpr_write_b32 acc124, v8                     // 
v_accvgpr_write_b32 acc77, v9                      // 
v_accvgpr_write_b32 acc93, v10                     // 
v_accvgpr_write_b32 acc109, v11                    // 
v_accvgpr_write_b32 acc125, v12                    // 
v_accvgpr_write_b32 acc78, v13                     // 
v_accvgpr_write_b32 acc94, v14                     // 
v_accvgpr_read_b32 v5, acc173                      // glvw 10 mb 3 tt1 2 r 0
v_accvgpr_read_b32 v6, acc189                      // glvw 10 mb 3 tt1 2 r 0
v_accvgpr_read_b32 v7, acc142                      // glvw 10 mb 3 tt1 2 r 0
v_accvgpr_read_b32 v8, acc158                      // glvw 10 mb 3 tt1 2 r 0
v_accvgpr_read_b32 v9, acc174                      // glvw 10 mb 3 tt1 2 r 0
v_accvgpr_read_b32 v10, acc190                     // glvw 10 mb 3 tt1 2 r 0
v_accvgpr_read_b32 v11, acc143                     // glvw 10 mb 3 tt1 2 r 0
v_accvgpr_read_b32 v12, acc159                     // glvw 10 mb 3 tt1 2 r 0
v_accvgpr_read_b32 v13, acc175                     // glvw 10 mb 3 tt1 2 r 0
v_accvgpr_read_b32 v14, acc191                     // glvw 10 mb 3 tt1 2 r 0
s_nop 1                                            // v_accvgpr read vgpr after write vgpr: 2 wait states
v_accvgpr_write_b32 acc140, v5                     // 
v_accvgpr_write_b32 acc156, v6                     // 
v_accvgpr_write_b32 acc172, v7                     // 
v_accvgpr_write_b32 acc188, v8                     // 
v_accvgpr_write_b32 acc141, v9                     // 
v_accvgpr_write_b32 acc157, v10                    // 
v_accvgpr_write_b32 acc173, v11                    // 
v_accvgpr_write_b32 acc189, v12                    // 
v_accvgpr_write_b32 acc142, v13                    // 
v_accvgpr_write_b32 acc158, v14                    // 
v_accvgpr_read_b32 v5, acc237                      // glvw 10 mb 3 tt1 3 r 0
v_accvgpr_read_b32 v6, acc253                      // glvw 10 mb 3 tt1 3 r 0
v_accvgpr_read_b32 v7, acc206                      // glvw 10 mb 3 tt1 3 r 0
v_accvgpr_read_b32 v8, acc222                      // glvw 10 mb 3 tt1 3 r 0
v_accvgpr_read_b32 v9, acc238                      // glvw 10 mb 3 tt1 3 r 0
v_accvgpr_read_b32 v10, acc254                     // glvw 10 mb 3 tt1 3 r 0
v_accvgpr_read_b32 v11, acc207                     // glvw 10 mb 3 tt1 3 r 0
v_accvgpr_read_b32 v12, acc223                     // glvw 10 mb 3 tt1 3 r 0
v_accvgpr_read_b32 v13, acc239                     // glvw 10 mb 3 tt1 3 r 0
v_accvgpr_read_b32 v14, acc255                     // glvw 10 mb 3 tt1 3 r 0
s_nop 1                                            // v_accvgpr read vgpr after write vgpr: 2 wait states
v_accvgpr_write_b32 acc204, v5                     // 
v_accvgpr_write_b32 acc220, v6                     // 
v_accvgpr_write_b32 acc236, v7                     // 
v_accvgpr_write_b32 acc252, v8                     // 
v_accvgpr_write_b32 acc205, v9                     // 
v_accvgpr_write_b32 acc221, v10                    // 
v_accvgpr_write_b32 acc237, v11                    // 
v_accvgpr_write_b32 acc253, v12                    // 
v_accvgpr_write_b32 acc206, v13                    // 
v_accvgpr_write_b32 acc222, v14                    // 
s_mov_b64 s[42:43], 0xFFFFFFFFFFFFFFFF             // to restore all threads active
s_or_saveexec_b64 vcc, s[42:43]                    // all threads active
s_branch label_0168                                // done shifting


/******************************************/
/* shift d0 r=11 mb=0 vw0                 */
/******************************************/
label_0125: // r11 mb0 vw0 
s_mov_b32 s42, 0                                   // 
_v_cmpx_eq_u32 s[42:43], v4, s42                   // is thread in edge glvw region
v_and_b32 v0, 63, v[vgprSerial]                    // permute register between threads
v_lshlrev_b32 v0, 2, v0                            // permute register between threads
v_accvgpr_read_b32 v5, acc17                       // glvw 11 mb 0 tt1 0 r 0
v_accvgpr_read_b32 v6, acc33                       // glvw 11 mb 0 tt1 0 r 0
v_accvgpr_read_b32 v7, acc49                       // glvw 11 mb 0 tt1 0 r 0
v_accvgpr_read_b32 v8, acc2                        // glvw 11 mb 0 tt1 0 r 0
v_accvgpr_read_b32 v9, acc18                       // glvw 11 mb 0 tt1 0 r 0
v_accvgpr_read_b32 v10, acc34                      // glvw 11 mb 0 tt1 0 r 0
v_accvgpr_read_b32 v11, acc50                      // glvw 11 mb 0 tt1 0 r 0
v_accvgpr_read_b32 v12, acc3                       // glvw 11 mb 0 tt1 0 r 0
v_accvgpr_read_b32 v13, acc19                      // glvw 11 mb 0 tt1 0 r 0
v_accvgpr_read_b32 v14, acc35                      // glvw 11 mb 0 tt1 0 r 0
v_accvgpr_read_b32 v15, acc51                      // glvw 11 mb 0 tt1 0 r 0
s_nop 1                                            // v_accvgpr read vgpr after write vgpr: 2 wait states
v_accvgpr_write_b32 acc0, v5                       // 
v_accvgpr_write_b32 acc16, v6                      // 
v_accvgpr_write_b32 acc32, v7                      // 
v_accvgpr_write_b32 acc48, v8                      // 
v_accvgpr_write_b32 acc1, v9                       // 
v_accvgpr_write_b32 acc17, v10                     // 
v_accvgpr_write_b32 acc33, v11                     // 
v_accvgpr_write_b32 acc49, v12                     // 
v_accvgpr_write_b32 acc2, v13                      // 
v_accvgpr_write_b32 acc18, v14                     // 
v_accvgpr_write_b32 acc34, v15                     // 
v_accvgpr_read_b32 v5, acc81                       // glvw 11 mb 0 tt1 1 r 0
v_accvgpr_read_b32 v6, acc97                       // glvw 11 mb 0 tt1 1 r 0
v_accvgpr_read_b32 v7, acc113                      // glvw 11 mb 0 tt1 1 r 0
v_accvgpr_read_b32 v8, acc66                       // glvw 11 mb 0 tt1 1 r 0
v_accvgpr_read_b32 v9, acc82                       // glvw 11 mb 0 tt1 1 r 0
v_accvgpr_read_b32 v10, acc98                      // glvw 11 mb 0 tt1 1 r 0
v_accvgpr_read_b32 v11, acc114                     // glvw 11 mb 0 tt1 1 r 0
v_accvgpr_read_b32 v12, acc67                      // glvw 11 mb 0 tt1 1 r 0
v_accvgpr_read_b32 v13, acc83                      // glvw 11 mb 0 tt1 1 r 0
v_accvgpr_read_b32 v14, acc99                      // glvw 11 mb 0 tt1 1 r 0
v_accvgpr_read_b32 v15, acc115                     // glvw 11 mb 0 tt1 1 r 0
s_nop 1                                            // v_accvgpr read vgpr after write vgpr: 2 wait states
v_accvgpr_write_b32 acc64, v5                      // 
v_accvgpr_write_b32 acc80, v6                      // 
v_accvgpr_write_b32 acc96, v7                      // 
v_accvgpr_write_b32 acc112, v8                     // 
v_accvgpr_write_b32 acc65, v9                      // 
v_accvgpr_write_b32 acc81, v10                     // 
v_accvgpr_write_b32 acc97, v11                     // 
v_accvgpr_write_b32 acc113, v12                    // 
v_accvgpr_write_b32 acc66, v13                     // 
v_accvgpr_write_b32 acc82, v14                     // 
v_accvgpr_write_b32 acc98, v15                     // 
v_accvgpr_read_b32 v5, acc145                      // glvw 11 mb 0 tt1 2 r 0
v_accvgpr_read_b32 v6, acc161                      // glvw 11 mb 0 tt1 2 r 0
v_accvgpr_read_b32 v7, acc177                      // glvw 11 mb 0 tt1 2 r 0
v_accvgpr_read_b32 v8, acc130                      // glvw 11 mb 0 tt1 2 r 0
v_accvgpr_read_b32 v9, acc146                      // glvw 11 mb 0 tt1 2 r 0
v_accvgpr_read_b32 v10, acc162                     // glvw 11 mb 0 tt1 2 r 0
v_accvgpr_read_b32 v11, acc178                     // glvw 11 mb 0 tt1 2 r 0
v_accvgpr_read_b32 v12, acc131                     // glvw 11 mb 0 tt1 2 r 0
v_accvgpr_read_b32 v13, acc147                     // glvw 11 mb 0 tt1 2 r 0
v_accvgpr_read_b32 v14, acc163                     // glvw 11 mb 0 tt1 2 r 0
v_accvgpr_read_b32 v15, acc179                     // glvw 11 mb 0 tt1 2 r 0
s_nop 1                                            // v_accvgpr read vgpr after write vgpr: 2 wait states
v_accvgpr_write_b32 acc128, v5                     // 
v_accvgpr_write_b32 acc144, v6                     // 
v_accvgpr_write_b32 acc160, v7                     // 
v_accvgpr_write_b32 acc176, v8                     // 
v_accvgpr_write_b32 acc129, v9                     // 
v_accvgpr_write_b32 acc145, v10                    // 
v_accvgpr_write_b32 acc161, v11                    // 
v_accvgpr_write_b32 acc177, v12                    // 
v_accvgpr_write_b32 acc130, v13                    // 
v_accvgpr_write_b32 acc146, v14                    // 
v_accvgpr_write_b32 acc162, v15                    // 
v_accvgpr_read_b32 v5, acc209                      // glvw 11 mb 0 tt1 3 r 0
v_accvgpr_read_b32 v6, acc225                      // glvw 11 mb 0 tt1 3 r 0
v_accvgpr_read_b32 v7, acc241                      // glvw 11 mb 0 tt1 3 r 0
v_accvgpr_read_b32 v8, acc194                      // glvw 11 mb 0 tt1 3 r 0
v_accvgpr_read_b32 v9, acc210                      // glvw 11 mb 0 tt1 3 r 0
v_accvgpr_read_b32 v10, acc226                     // glvw 11 mb 0 tt1 3 r 0
v_accvgpr_read_b32 v11, acc242                     // glvw 11 mb 0 tt1 3 r 0
v_accvgpr_read_b32 v12, acc195                     // glvw 11 mb 0 tt1 3 r 0
v_accvgpr_read_b32 v13, acc211                     // glvw 11 mb 0 tt1 3 r 0
v_accvgpr_read_b32 v14, acc227                     // glvw 11 mb 0 tt1 3 r 0
v_accvgpr_read_b32 v15, acc243                     // glvw 11 mb 0 tt1 3 r 0
s_nop 1                                            // v_accvgpr read vgpr after write vgpr: 2 wait states
v_accvgpr_write_b32 acc192, v5                     // 
v_accvgpr_write_b32 acc208, v6                     // 
v_accvgpr_write_b32 acc224, v7                     // 
v_accvgpr_write_b32 acc240, v8                     // 
v_accvgpr_write_b32 acc193, v9                     // 
v_accvgpr_write_b32 acc209, v10                    // 
v_accvgpr_write_b32 acc225, v11                    // 
v_accvgpr_write_b32 acc241, v12                    // 
v_accvgpr_write_b32 acc194, v13                    // 
v_accvgpr_write_b32 acc210, v14                    // 
v_accvgpr_write_b32 acc226, v15                    // 
s_mov_b64 s[42:43], 0xFFFFFFFFFFFFFFFF             // to restore all threads active
s_or_saveexec_b64 vcc, s[42:43]                    // all threads active
s_branch label_0168                                // done shifting


/******************************************/
/* shift d0 r=11 mb=1 vw0                 */
/******************************************/
label_0127: // r11 mb1 vw0 
s_mov_b32 s42, 2                                   // 
_v_cmpx_eq_u32 s[42:43], v4, s42                   // is thread in edge glvw region
v_and_b32 v0, 63, v[vgprSerial]                    // permute register between threads
v_lshlrev_b32 v0, 2, v0                            // permute register between threads
v_accvgpr_read_b32 v5, acc21                       // glvw 11 mb 1 tt1 0 r 0
v_accvgpr_read_b32 v6, acc37                       // glvw 11 mb 1 tt1 0 r 0
v_accvgpr_read_b32 v7, acc53                       // glvw 11 mb 1 tt1 0 r 0
v_accvgpr_read_b32 v8, acc6                        // glvw 11 mb 1 tt1 0 r 0
v_accvgpr_read_b32 v9, acc22                       // glvw 11 mb 1 tt1 0 r 0
v_accvgpr_read_b32 v10, acc38                      // glvw 11 mb 1 tt1 0 r 0
v_accvgpr_read_b32 v11, acc54                      // glvw 11 mb 1 tt1 0 r 0
v_accvgpr_read_b32 v12, acc7                       // glvw 11 mb 1 tt1 0 r 0
v_accvgpr_read_b32 v13, acc23                      // glvw 11 mb 1 tt1 0 r 0
v_accvgpr_read_b32 v14, acc39                      // glvw 11 mb 1 tt1 0 r 0
v_accvgpr_read_b32 v15, acc55                      // glvw 11 mb 1 tt1 0 r 0
s_nop 1                                            // v_accvgpr read vgpr after write vgpr: 2 wait states
v_accvgpr_write_b32 acc4, v5                       // 
v_accvgpr_write_b32 acc20, v6                      // 
v_accvgpr_write_b32 acc36, v7                      // 
v_accvgpr_write_b32 acc52, v8                      // 
v_accvgpr_write_b32 acc5, v9                       // 
v_accvgpr_write_b32 acc21, v10                     // 
v_accvgpr_write_b32 acc37, v11                     // 
v_accvgpr_write_b32 acc53, v12                     // 
v_accvgpr_write_b32 acc6, v13                      // 
v_accvgpr_write_b32 acc22, v14                     // 
v_accvgpr_write_b32 acc38, v15                     // 
v_accvgpr_read_b32 v5, acc85                       // glvw 11 mb 1 tt1 1 r 0
v_accvgpr_read_b32 v6, acc101                      // glvw 11 mb 1 tt1 1 r 0
v_accvgpr_read_b32 v7, acc117                      // glvw 11 mb 1 tt1 1 r 0
v_accvgpr_read_b32 v8, acc70                       // glvw 11 mb 1 tt1 1 r 0
v_accvgpr_read_b32 v9, acc86                       // glvw 11 mb 1 tt1 1 r 0
v_accvgpr_read_b32 v10, acc102                     // glvw 11 mb 1 tt1 1 r 0
v_accvgpr_read_b32 v11, acc118                     // glvw 11 mb 1 tt1 1 r 0
v_accvgpr_read_b32 v12, acc71                      // glvw 11 mb 1 tt1 1 r 0
v_accvgpr_read_b32 v13, acc87                      // glvw 11 mb 1 tt1 1 r 0
v_accvgpr_read_b32 v14, acc103                     // glvw 11 mb 1 tt1 1 r 0
v_accvgpr_read_b32 v15, acc119                     // glvw 11 mb 1 tt1 1 r 0
s_nop 1                                            // v_accvgpr read vgpr after write vgpr: 2 wait states
v_accvgpr_write_b32 acc68, v5                      // 
v_accvgpr_write_b32 acc84, v6                      // 
v_accvgpr_write_b32 acc100, v7                     // 
v_accvgpr_write_b32 acc116, v8                     // 
v_accvgpr_write_b32 acc69, v9                      // 
v_accvgpr_write_b32 acc85, v10                     // 
v_accvgpr_write_b32 acc101, v11                    // 
v_accvgpr_write_b32 acc117, v12                    // 
v_accvgpr_write_b32 acc70, v13                     // 
v_accvgpr_write_b32 acc86, v14                     // 
v_accvgpr_write_b32 acc102, v15                    // 
v_accvgpr_read_b32 v5, acc149                      // glvw 11 mb 1 tt1 2 r 0
v_accvgpr_read_b32 v6, acc165                      // glvw 11 mb 1 tt1 2 r 0
v_accvgpr_read_b32 v7, acc181                      // glvw 11 mb 1 tt1 2 r 0
v_accvgpr_read_b32 v8, acc134                      // glvw 11 mb 1 tt1 2 r 0
v_accvgpr_read_b32 v9, acc150                      // glvw 11 mb 1 tt1 2 r 0
v_accvgpr_read_b32 v10, acc166                     // glvw 11 mb 1 tt1 2 r 0
v_accvgpr_read_b32 v11, acc182                     // glvw 11 mb 1 tt1 2 r 0
v_accvgpr_read_b32 v12, acc135                     // glvw 11 mb 1 tt1 2 r 0
v_accvgpr_read_b32 v13, acc151                     // glvw 11 mb 1 tt1 2 r 0
v_accvgpr_read_b32 v14, acc167                     // glvw 11 mb 1 tt1 2 r 0
v_accvgpr_read_b32 v15, acc183                     // glvw 11 mb 1 tt1 2 r 0
s_nop 1                                            // v_accvgpr read vgpr after write vgpr: 2 wait states
v_accvgpr_write_b32 acc132, v5                     // 
v_accvgpr_write_b32 acc148, v6                     // 
v_accvgpr_write_b32 acc164, v7                     // 
v_accvgpr_write_b32 acc180, v8                     // 
v_accvgpr_write_b32 acc133, v9                     // 
v_accvgpr_write_b32 acc149, v10                    // 
v_accvgpr_write_b32 acc165, v11                    // 
v_accvgpr_write_b32 acc181, v12                    // 
v_accvgpr_write_b32 acc134, v13                    // 
v_accvgpr_write_b32 acc150, v14                    // 
v_accvgpr_write_b32 acc166, v15                    // 
v_accvgpr_read_b32 v5, acc213                      // glvw 11 mb 1 tt1 3 r 0
v_accvgpr_read_b32 v6, acc229                      // glvw 11 mb 1 tt1 3 r 0
v_accvgpr_read_b32 v7, acc245                      // glvw 11 mb 1 tt1 3 r 0
v_accvgpr_read_b32 v8, acc198                      // glvw 11 mb 1 tt1 3 r 0
v_accvgpr_read_b32 v9, acc214                      // glvw 11 mb 1 tt1 3 r 0
v_accvgpr_read_b32 v10, acc230                     // glvw 11 mb 1 tt1 3 r 0
v_accvgpr_read_b32 v11, acc246                     // glvw 11 mb 1 tt1 3 r 0
v_accvgpr_read_b32 v12, acc199                     // glvw 11 mb 1 tt1 3 r 0
v_accvgpr_read_b32 v13, acc215                     // glvw 11 mb 1 tt1 3 r 0
v_accvgpr_read_b32 v14, acc231                     // glvw 11 mb 1 tt1 3 r 0
v_accvgpr_read_b32 v15, acc247                     // glvw 11 mb 1 tt1 3 r 0
s_nop 1                                            // v_accvgpr read vgpr after write vgpr: 2 wait states
v_accvgpr_write_b32 acc196, v5                     // 
v_accvgpr_write_b32 acc212, v6                     // 
v_accvgpr_write_b32 acc228, v7                     // 
v_accvgpr_write_b32 acc244, v8                     // 
v_accvgpr_write_b32 acc197, v9                     // 
v_accvgpr_write_b32 acc213, v10                    // 
v_accvgpr_write_b32 acc229, v11                    // 
v_accvgpr_write_b32 acc245, v12                    // 
v_accvgpr_write_b32 acc198, v13                    // 
v_accvgpr_write_b32 acc214, v14                    // 
v_accvgpr_write_b32 acc230, v15                    // 
s_mov_b64 s[42:43], 0xFFFFFFFFFFFFFFFF             // to restore all threads active
s_or_saveexec_b64 vcc, s[42:43]                    // all threads active
s_branch label_0168                                // done shifting


/******************************************/
/* shift d0 r=11 mb=2 vw0                 */
/******************************************/
label_0129: // r11 mb2 vw0 
s_mov_b32 s42, 4                                   // 
_v_cmpx_eq_u32 s[42:43], v4, s42                   // is thread in edge glvw region
v_and_b32 v0, 63, v[vgprSerial]                    // permute register between threads
v_lshlrev_b32 v0, 2, v0                            // permute register between threads
v_accvgpr_read_b32 v5, acc25                       // glvw 11 mb 2 tt1 0 r 0
v_accvgpr_read_b32 v6, acc41                       // glvw 11 mb 2 tt1 0 r 0
v_accvgpr_read_b32 v7, acc57                       // glvw 11 mb 2 tt1 0 r 0
v_accvgpr_read_b32 v8, acc10                       // glvw 11 mb 2 tt1 0 r 0
v_accvgpr_read_b32 v9, acc26                       // glvw 11 mb 2 tt1 0 r 0
v_accvgpr_read_b32 v10, acc42                      // glvw 11 mb 2 tt1 0 r 0
v_accvgpr_read_b32 v11, acc58                      // glvw 11 mb 2 tt1 0 r 0
v_accvgpr_read_b32 v12, acc11                      // glvw 11 mb 2 tt1 0 r 0
v_accvgpr_read_b32 v13, acc27                      // glvw 11 mb 2 tt1 0 r 0
v_accvgpr_read_b32 v14, acc43                      // glvw 11 mb 2 tt1 0 r 0
v_accvgpr_read_b32 v15, acc59                      // glvw 11 mb 2 tt1 0 r 0
s_nop 1                                            // v_accvgpr read vgpr after write vgpr: 2 wait states
v_accvgpr_write_b32 acc8, v5                       // 
v_accvgpr_write_b32 acc24, v6                      // 
v_accvgpr_write_b32 acc40, v7                      // 
v_accvgpr_write_b32 acc56, v8                      // 
v_accvgpr_write_b32 acc9, v9                       // 
v_accvgpr_write_b32 acc25, v10                     // 
v_accvgpr_write_b32 acc41, v11                     // 
v_accvgpr_write_b32 acc57, v12                     // 
v_accvgpr_write_b32 acc10, v13                     // 
v_accvgpr_write_b32 acc26, v14                     // 
v_accvgpr_write_b32 acc42, v15                     // 
v_accvgpr_read_b32 v5, acc89                       // glvw 11 mb 2 tt1 1 r 0
v_accvgpr_read_b32 v6, acc105                      // glvw 11 mb 2 tt1 1 r 0
v_accvgpr_read_b32 v7, acc121                      // glvw 11 mb 2 tt1 1 r 0
v_accvgpr_read_b32 v8, acc74                       // glvw 11 mb 2 tt1 1 r 0
v_accvgpr_read_b32 v9, acc90                       // glvw 11 mb 2 tt1 1 r 0
v_accvgpr_read_b32 v10, acc106                     // glvw 11 mb 2 tt1 1 r 0
v_accvgpr_read_b32 v11, acc122                     // glvw 11 mb 2 tt1 1 r 0
v_accvgpr_read_b32 v12, acc75                      // glvw 11 mb 2 tt1 1 r 0
v_accvgpr_read_b32 v13, acc91                      // glvw 11 mb 2 tt1 1 r 0
v_accvgpr_read_b32 v14, acc107                     // glvw 11 mb 2 tt1 1 r 0
v_accvgpr_read_b32 v15, acc123                     // glvw 11 mb 2 tt1 1 r 0
s_nop 1                                            // v_accvgpr read vgpr after write vgpr: 2 wait states
v_accvgpr_write_b32 acc72, v5                      // 
v_accvgpr_write_b32 acc88, v6                      // 
v_accvgpr_write_b32 acc104, v7                     // 
v_accvgpr_write_b32 acc120, v8                     // 
v_accvgpr_write_b32 acc73, v9                      // 
v_accvgpr_write_b32 acc89, v10                     // 
v_accvgpr_write_b32 acc105, v11                    // 
v_accvgpr_write_b32 acc121, v12                    // 
v_accvgpr_write_b32 acc74, v13                     // 
v_accvgpr_write_b32 acc90, v14                     // 
v_accvgpr_write_b32 acc106, v15                    // 
v_accvgpr_read_b32 v5, acc153                      // glvw 11 mb 2 tt1 2 r 0
v_accvgpr_read_b32 v6, acc169                      // glvw 11 mb 2 tt1 2 r 0
v_accvgpr_read_b32 v7, acc185                      // glvw 11 mb 2 tt1 2 r 0
v_accvgpr_read_b32 v8, acc138                      // glvw 11 mb 2 tt1 2 r 0
v_accvgpr_read_b32 v9, acc154                      // glvw 11 mb 2 tt1 2 r 0
v_accvgpr_read_b32 v10, acc170                     // glvw 11 mb 2 tt1 2 r 0
v_accvgpr_read_b32 v11, acc186                     // glvw 11 mb 2 tt1 2 r 0
v_accvgpr_read_b32 v12, acc139                     // glvw 11 mb 2 tt1 2 r 0
v_accvgpr_read_b32 v13, acc155                     // glvw 11 mb 2 tt1 2 r 0
v_accvgpr_read_b32 v14, acc171                     // glvw 11 mb 2 tt1 2 r 0
v_accvgpr_read_b32 v15, acc187                     // glvw 11 mb 2 tt1 2 r 0
s_nop 1                                            // v_accvgpr read vgpr after write vgpr: 2 wait states
v_accvgpr_write_b32 acc136, v5                     // 
v_accvgpr_write_b32 acc152, v6                     // 
v_accvgpr_write_b32 acc168, v7                     // 
v_accvgpr_write_b32 acc184, v8                     // 
v_accvgpr_write_b32 acc137, v9                     // 
v_accvgpr_write_b32 acc153, v10                    // 
v_accvgpr_write_b32 acc169, v11                    // 
v_accvgpr_write_b32 acc185, v12                    // 
v_accvgpr_write_b32 acc138, v13                    // 
v_accvgpr_write_b32 acc154, v14                    // 
v_accvgpr_write_b32 acc170, v15                    // 
v_accvgpr_read_b32 v5, acc217                      // glvw 11 mb 2 tt1 3 r 0
v_accvgpr_read_b32 v6, acc233                      // glvw 11 mb 2 tt1 3 r 0
v_accvgpr_read_b32 v7, acc249                      // glvw 11 mb 2 tt1 3 r 0
v_accvgpr_read_b32 v8, acc202                      // glvw 11 mb 2 tt1 3 r 0
v_accvgpr_read_b32 v9, acc218                      // glvw 11 mb 2 tt1 3 r 0
v_accvgpr_read_b32 v10, acc234                     // glvw 11 mb 2 tt1 3 r 0
v_accvgpr_read_b32 v11, acc250                     // glvw 11 mb 2 tt1 3 r 0
v_accvgpr_read_b32 v12, acc203                     // glvw 11 mb 2 tt1 3 r 0
v_accvgpr_read_b32 v13, acc219                     // glvw 11 mb 2 tt1 3 r 0
v_accvgpr_read_b32 v14, acc235                     // glvw 11 mb 2 tt1 3 r 0
v_accvgpr_read_b32 v15, acc251                     // glvw 11 mb 2 tt1 3 r 0
s_nop 1                                            // v_accvgpr read vgpr after write vgpr: 2 wait states
v_accvgpr_write_b32 acc200, v5                     // 
v_accvgpr_write_b32 acc216, v6                     // 
v_accvgpr_write_b32 acc232, v7                     // 
v_accvgpr_write_b32 acc248, v8                     // 
v_accvgpr_write_b32 acc201, v9                     // 
v_accvgpr_write_b32 acc217, v10                    // 
v_accvgpr_write_b32 acc233, v11                    // 
v_accvgpr_write_b32 acc249, v12                    // 
v_accvgpr_write_b32 acc202, v13                    // 
v_accvgpr_write_b32 acc218, v14                    // 
v_accvgpr_write_b32 acc234, v15                    // 
s_mov_b64 s[42:43], 0xFFFFFFFFFFFFFFFF             // to restore all threads active
s_or_saveexec_b64 vcc, s[42:43]                    // all threads active
s_branch label_0168                                // done shifting


/******************************************/
/* shift d0 r=11 mb=3 vw0                 */
/******************************************/
label_0131: // r11 mb3 vw0 
s_mov_b32 s42, 6                                   // 
_v_cmpx_eq_u32 s[42:43], v4, s42                   // is thread in edge glvw region
v_and_b32 v0, 63, v[vgprSerial]                    // permute register between threads
v_lshlrev_b32 v0, 2, v0                            // permute register between threads
v_accvgpr_read_b32 v5, acc29                       // glvw 11 mb 3 tt1 0 r 0
v_accvgpr_read_b32 v6, acc45                       // glvw 11 mb 3 tt1 0 r 0
v_accvgpr_read_b32 v7, acc61                       // glvw 11 mb 3 tt1 0 r 0
v_accvgpr_read_b32 v8, acc14                       // glvw 11 mb 3 tt1 0 r 0
v_accvgpr_read_b32 v9, acc30                       // glvw 11 mb 3 tt1 0 r 0
v_accvgpr_read_b32 v10, acc46                      // glvw 11 mb 3 tt1 0 r 0
v_accvgpr_read_b32 v11, acc62                      // glvw 11 mb 3 tt1 0 r 0
v_accvgpr_read_b32 v12, acc15                      // glvw 11 mb 3 tt1 0 r 0
v_accvgpr_read_b32 v13, acc31                      // glvw 11 mb 3 tt1 0 r 0
v_accvgpr_read_b32 v14, acc47                      // glvw 11 mb 3 tt1 0 r 0
v_accvgpr_read_b32 v15, acc63                      // glvw 11 mb 3 tt1 0 r 0
s_nop 1                                            // v_accvgpr read vgpr after write vgpr: 2 wait states
v_accvgpr_write_b32 acc12, v5                      // 
v_accvgpr_write_b32 acc28, v6                      // 
v_accvgpr_write_b32 acc44, v7                      // 
v_accvgpr_write_b32 acc60, v8                      // 
v_accvgpr_write_b32 acc13, v9                      // 
v_accvgpr_write_b32 acc29, v10                     // 
v_accvgpr_write_b32 acc45, v11                     // 
v_accvgpr_write_b32 acc61, v12                     // 
v_accvgpr_write_b32 acc14, v13                     // 
v_accvgpr_write_b32 acc30, v14                     // 
v_accvgpr_write_b32 acc46, v15                     // 
v_accvgpr_read_b32 v5, acc93                       // glvw 11 mb 3 tt1 1 r 0
v_accvgpr_read_b32 v6, acc109                      // glvw 11 mb 3 tt1 1 r 0
v_accvgpr_read_b32 v7, acc125                      // glvw 11 mb 3 tt1 1 r 0
v_accvgpr_read_b32 v8, acc78                       // glvw 11 mb 3 tt1 1 r 0
v_accvgpr_read_b32 v9, acc94                       // glvw 11 mb 3 tt1 1 r 0
v_accvgpr_read_b32 v10, acc110                     // glvw 11 mb 3 tt1 1 r 0
v_accvgpr_read_b32 v11, acc126                     // glvw 11 mb 3 tt1 1 r 0
v_accvgpr_read_b32 v12, acc79                      // glvw 11 mb 3 tt1 1 r 0
v_accvgpr_read_b32 v13, acc95                      // glvw 11 mb 3 tt1 1 r 0
v_accvgpr_read_b32 v14, acc111                     // glvw 11 mb 3 tt1 1 r 0
v_accvgpr_read_b32 v15, acc127                     // glvw 11 mb 3 tt1 1 r 0
s_nop 1                                            // v_accvgpr read vgpr after write vgpr: 2 wait states
v_accvgpr_write_b32 acc76, v5                      // 
v_accvgpr_write_b32 acc92, v6                      // 
v_accvgpr_write_b32 acc108, v7                     // 
v_accvgpr_write_b32 acc124, v8                     // 
v_accvgpr_write_b32 acc77, v9                      // 
v_accvgpr_write_b32 acc93, v10                     // 
v_accvgpr_write_b32 acc109, v11                    // 
v_accvgpr_write_b32 acc125, v12                    // 
v_accvgpr_write_b32 acc78, v13                     // 
v_accvgpr_write_b32 acc94, v14                     // 
v_accvgpr_write_b32 acc110, v15                    // 
v_accvgpr_read_b32 v5, acc157                      // glvw 11 mb 3 tt1 2 r 0
v_accvgpr_read_b32 v6, acc173                      // glvw 11 mb 3 tt1 2 r 0
v_accvgpr_read_b32 v7, acc189                      // glvw 11 mb 3 tt1 2 r 0
v_accvgpr_read_b32 v8, acc142                      // glvw 11 mb 3 tt1 2 r 0
v_accvgpr_read_b32 v9, acc158                      // glvw 11 mb 3 tt1 2 r 0
v_accvgpr_read_b32 v10, acc174                     // glvw 11 mb 3 tt1 2 r 0
v_accvgpr_read_b32 v11, acc190                     // glvw 11 mb 3 tt1 2 r 0
v_accvgpr_read_b32 v12, acc143                     // glvw 11 mb 3 tt1 2 r 0
v_accvgpr_read_b32 v13, acc159                     // glvw 11 mb 3 tt1 2 r 0
v_accvgpr_read_b32 v14, acc175                     // glvw 11 mb 3 tt1 2 r 0
v_accvgpr_read_b32 v15, acc191                     // glvw 11 mb 3 tt1 2 r 0
s_nop 1                                            // v_accvgpr read vgpr after write vgpr: 2 wait states
v_accvgpr_write_b32 acc140, v5                     // 
v_accvgpr_write_b32 acc156, v6                     // 
v_accvgpr_write_b32 acc172, v7                     // 
v_accvgpr_write_b32 acc188, v8                     // 
v_accvgpr_write_b32 acc141, v9                     // 
v_accvgpr_write_b32 acc157, v10                    // 
v_accvgpr_write_b32 acc173, v11                    // 
v_accvgpr_write_b32 acc189, v12                    // 
v_accvgpr_write_b32 acc142, v13                    // 
v_accvgpr_write_b32 acc158, v14                    // 
v_accvgpr_write_b32 acc174, v15                    // 
v_accvgpr_read_b32 v5, acc221                      // glvw 11 mb 3 tt1 3 r 0
v_accvgpr_read_b32 v6, acc237                      // glvw 11 mb 3 tt1 3 r 0
v_accvgpr_read_b32 v7, acc253                      // glvw 11 mb 3 tt1 3 r 0
v_accvgpr_read_b32 v8, acc206                      // glvw 11 mb 3 tt1 3 r 0
v_accvgpr_read_b32 v9, acc222                      // glvw 11 mb 3 tt1 3 r 0
v_accvgpr_read_b32 v10, acc238                     // glvw 11 mb 3 tt1 3 r 0
v_accvgpr_read_b32 v11, acc254                     // glvw 11 mb 3 tt1 3 r 0
v_accvgpr_read_b32 v12, acc207                     // glvw 11 mb 3 tt1 3 r 0
v_accvgpr_read_b32 v13, acc223                     // glvw 11 mb 3 tt1 3 r 0
v_accvgpr_read_b32 v14, acc239                     // glvw 11 mb 3 tt1 3 r 0
v_accvgpr_read_b32 v15, acc255                     // glvw 11 mb 3 tt1 3 r 0
s_nop 1                                            // v_accvgpr read vgpr after write vgpr: 2 wait states
v_accvgpr_write_b32 acc204, v5                     // 
v_accvgpr_write_b32 acc220, v6                     // 
v_accvgpr_write_b32 acc236, v7                     // 
v_accvgpr_write_b32 acc252, v8                     // 
v_accvgpr_write_b32 acc205, v9                     // 
v_accvgpr_write_b32 acc221, v10                    // 
v_accvgpr_write_b32 acc237, v11                    // 
v_accvgpr_write_b32 acc253, v12                    // 
v_accvgpr_write_b32 acc206, v13                    // 
v_accvgpr_write_b32 acc222, v14                    // 
v_accvgpr_write_b32 acc238, v15                    // 
s_mov_b64 s[42:43], 0xFFFFFFFFFFFFFFFF             // to restore all threads active
s_or_saveexec_b64 vcc, s[42:43]                    // all threads active
s_branch label_0168                                // done shifting


/******************************************/
/* shift d0 r=12 mb=0 vw0                 */
/******************************************/
label_0134: // r12 mb0 vw0 
s_mov_b32 s42, 0                                   // 
_v_cmpx_eq_u32 s[42:43], v4, s42                   // is thread in edge glvw region
v_and_b32 v0, 63, v[vgprSerial]                    // permute register between threads
v_lshlrev_b32 v0, 2, v0                            // permute register between threads
v_accvgpr_read_b32 v5, acc1                        // glvw 12 mb 0 tt1 0 r 0
v_accvgpr_read_b32 v6, acc17                       // glvw 12 mb 0 tt1 0 r 0
v_accvgpr_read_b32 v7, acc33                       // glvw 12 mb 0 tt1 0 r 0
v_accvgpr_read_b32 v8, acc49                       // glvw 12 mb 0 tt1 0 r 0
v_accvgpr_read_b32 v9, acc2                        // glvw 12 mb 0 tt1 0 r 0
v_accvgpr_read_b32 v10, acc18                      // glvw 12 mb 0 tt1 0 r 0
v_accvgpr_read_b32 v11, acc34                      // glvw 12 mb 0 tt1 0 r 0
v_accvgpr_read_b32 v12, acc50                      // glvw 12 mb 0 tt1 0 r 0
v_accvgpr_read_b32 v13, acc3                       // glvw 12 mb 0 tt1 0 r 0
v_accvgpr_read_b32 v14, acc19                      // glvw 12 mb 0 tt1 0 r 0
v_accvgpr_read_b32 v15, acc35                      // glvw 12 mb 0 tt1 0 r 0
v_accvgpr_read_b32 v16, acc51                      // glvw 12 mb 0 tt1 0 r 0
s_nop 1                                            // v_accvgpr read vgpr after write vgpr: 2 wait states
v_accvgpr_write_b32 acc0, v5                       // 
v_accvgpr_write_b32 acc16, v6                      // 
v_accvgpr_write_b32 acc32, v7                      // 
v_accvgpr_write_b32 acc48, v8                      // 
v_accvgpr_write_b32 acc1, v9                       // 
v_accvgpr_write_b32 acc17, v10                     // 
v_accvgpr_write_b32 acc33, v11                     // 
v_accvgpr_write_b32 acc49, v12                     // 
v_accvgpr_write_b32 acc2, v13                      // 
v_accvgpr_write_b32 acc18, v14                     // 
v_accvgpr_write_b32 acc34, v15                     // 
v_accvgpr_write_b32 acc50, v16                     // 
v_accvgpr_read_b32 v5, acc65                       // glvw 12 mb 0 tt1 1 r 0
v_accvgpr_read_b32 v6, acc81                       // glvw 12 mb 0 tt1 1 r 0
v_accvgpr_read_b32 v7, acc97                       // glvw 12 mb 0 tt1 1 r 0
v_accvgpr_read_b32 v8, acc113                      // glvw 12 mb 0 tt1 1 r 0
v_accvgpr_read_b32 v9, acc66                       // glvw 12 mb 0 tt1 1 r 0
v_accvgpr_read_b32 v10, acc82                      // glvw 12 mb 0 tt1 1 r 0
v_accvgpr_read_b32 v11, acc98                      // glvw 12 mb 0 tt1 1 r 0
v_accvgpr_read_b32 v12, acc114                     // glvw 12 mb 0 tt1 1 r 0
v_accvgpr_read_b32 v13, acc67                      // glvw 12 mb 0 tt1 1 r 0
v_accvgpr_read_b32 v14, acc83                      // glvw 12 mb 0 tt1 1 r 0
v_accvgpr_read_b32 v15, acc99                      // glvw 12 mb 0 tt1 1 r 0
v_accvgpr_read_b32 v16, acc115                     // glvw 12 mb 0 tt1 1 r 0
s_nop 1                                            // v_accvgpr read vgpr after write vgpr: 2 wait states
v_accvgpr_write_b32 acc64, v5                      // 
v_accvgpr_write_b32 acc80, v6                      // 
v_accvgpr_write_b32 acc96, v7                      // 
v_accvgpr_write_b32 acc112, v8                     // 
v_accvgpr_write_b32 acc65, v9                      // 
v_accvgpr_write_b32 acc81, v10                     // 
v_accvgpr_write_b32 acc97, v11                     // 
v_accvgpr_write_b32 acc113, v12                    // 
v_accvgpr_write_b32 acc66, v13                     // 
v_accvgpr_write_b32 acc82, v14                     // 
v_accvgpr_write_b32 acc98, v15                     // 
v_accvgpr_write_b32 acc114, v16                    // 
v_accvgpr_read_b32 v5, acc129                      // glvw 12 mb 0 tt1 2 r 0
v_accvgpr_read_b32 v6, acc145                      // glvw 12 mb 0 tt1 2 r 0
v_accvgpr_read_b32 v7, acc161                      // glvw 12 mb 0 tt1 2 r 0
v_accvgpr_read_b32 v8, acc177                      // glvw 12 mb 0 tt1 2 r 0
v_accvgpr_read_b32 v9, acc130                      // glvw 12 mb 0 tt1 2 r 0
v_accvgpr_read_b32 v10, acc146                     // glvw 12 mb 0 tt1 2 r 0
v_accvgpr_read_b32 v11, acc162                     // glvw 12 mb 0 tt1 2 r 0
v_accvgpr_read_b32 v12, acc178                     // glvw 12 mb 0 tt1 2 r 0
v_accvgpr_read_b32 v13, acc131                     // glvw 12 mb 0 tt1 2 r 0
v_accvgpr_read_b32 v14, acc147                     // glvw 12 mb 0 tt1 2 r 0
v_accvgpr_read_b32 v15, acc163                     // glvw 12 mb 0 tt1 2 r 0
v_accvgpr_read_b32 v16, acc179                     // glvw 12 mb 0 tt1 2 r 0
s_nop 1                                            // v_accvgpr read vgpr after write vgpr: 2 wait states
v_accvgpr_write_b32 acc128, v5                     // 
v_accvgpr_write_b32 acc144, v6                     // 
v_accvgpr_write_b32 acc160, v7                     // 
v_accvgpr_write_b32 acc176, v8                     // 
v_accvgpr_write_b32 acc129, v9                     // 
v_accvgpr_write_b32 acc145, v10                    // 
v_accvgpr_write_b32 acc161, v11                    // 
v_accvgpr_write_b32 acc177, v12                    // 
v_accvgpr_write_b32 acc130, v13                    // 
v_accvgpr_write_b32 acc146, v14                    // 
v_accvgpr_write_b32 acc162, v15                    // 
v_accvgpr_write_b32 acc178, v16                    // 
v_accvgpr_read_b32 v5, acc193                      // glvw 12 mb 0 tt1 3 r 0
v_accvgpr_read_b32 v6, acc209                      // glvw 12 mb 0 tt1 3 r 0
v_accvgpr_read_b32 v7, acc225                      // glvw 12 mb 0 tt1 3 r 0
v_accvgpr_read_b32 v8, acc241                      // glvw 12 mb 0 tt1 3 r 0
v_accvgpr_read_b32 v9, acc194                      // glvw 12 mb 0 tt1 3 r 0
v_accvgpr_read_b32 v10, acc210                     // glvw 12 mb 0 tt1 3 r 0
v_accvgpr_read_b32 v11, acc226                     // glvw 12 mb 0 tt1 3 r 0
v_accvgpr_read_b32 v12, acc242                     // glvw 12 mb 0 tt1 3 r 0
v_accvgpr_read_b32 v13, acc195                     // glvw 12 mb 0 tt1 3 r 0
v_accvgpr_read_b32 v14, acc211                     // glvw 12 mb 0 tt1 3 r 0
v_accvgpr_read_b32 v15, acc227                     // glvw 12 mb 0 tt1 3 r 0
v_accvgpr_read_b32 v16, acc243                     // glvw 12 mb 0 tt1 3 r 0
s_nop 1                                            // v_accvgpr read vgpr after write vgpr: 2 wait states
v_accvgpr_write_b32 acc192, v5                     // 
v_accvgpr_write_b32 acc208, v6                     // 
v_accvgpr_write_b32 acc224, v7                     // 
v_accvgpr_write_b32 acc240, v8                     // 
v_accvgpr_write_b32 acc193, v9                     // 
v_accvgpr_write_b32 acc209, v10                    // 
v_accvgpr_write_b32 acc225, v11                    // 
v_accvgpr_write_b32 acc241, v12                    // 
v_accvgpr_write_b32 acc194, v13                    // 
v_accvgpr_write_b32 acc210, v14                    // 
v_accvgpr_write_b32 acc226, v15                    // 
v_accvgpr_write_b32 acc242, v16                    // 
s_mov_b64 s[42:43], 0xFFFFFFFFFFFFFFFF             // to restore all threads active
s_or_saveexec_b64 vcc, s[42:43]                    // all threads active
s_branch label_0168                                // done shifting


/******************************************/
/* shift d0 r=12 mb=1 vw0                 */
/******************************************/
label_0136: // r12 mb1 vw0 
s_mov_b32 s42, 2                                   // 
_v_cmpx_eq_u32 s[42:43], v4, s42                   // is thread in edge glvw region
v_and_b32 v0, 63, v[vgprSerial]                    // permute register between threads
v_lshlrev_b32 v0, 2, v0                            // permute register between threads
v_accvgpr_read_b32 v5, acc5                        // glvw 12 mb 1 tt1 0 r 0
v_accvgpr_read_b32 v6, acc21                       // glvw 12 mb 1 tt1 0 r 0
v_accvgpr_read_b32 v7, acc37                       // glvw 12 mb 1 tt1 0 r 0
v_accvgpr_read_b32 v8, acc53                       // glvw 12 mb 1 tt1 0 r 0
v_accvgpr_read_b32 v9, acc6                        // glvw 12 mb 1 tt1 0 r 0
v_accvgpr_read_b32 v10, acc22                      // glvw 12 mb 1 tt1 0 r 0
v_accvgpr_read_b32 v11, acc38                      // glvw 12 mb 1 tt1 0 r 0
v_accvgpr_read_b32 v12, acc54                      // glvw 12 mb 1 tt1 0 r 0
v_accvgpr_read_b32 v13, acc7                       // glvw 12 mb 1 tt1 0 r 0
v_accvgpr_read_b32 v14, acc23                      // glvw 12 mb 1 tt1 0 r 0
v_accvgpr_read_b32 v15, acc39                      // glvw 12 mb 1 tt1 0 r 0
v_accvgpr_read_b32 v16, acc55                      // glvw 12 mb 1 tt1 0 r 0
s_nop 1                                            // v_accvgpr read vgpr after write vgpr: 2 wait states
v_accvgpr_write_b32 acc4, v5                       // 
v_accvgpr_write_b32 acc20, v6                      // 
v_accvgpr_write_b32 acc36, v7                      // 
v_accvgpr_write_b32 acc52, v8                      // 
v_accvgpr_write_b32 acc5, v9                       // 
v_accvgpr_write_b32 acc21, v10                     // 
v_accvgpr_write_b32 acc37, v11                     // 
v_accvgpr_write_b32 acc53, v12                     // 
v_accvgpr_write_b32 acc6, v13                      // 
v_accvgpr_write_b32 acc22, v14                     // 
v_accvgpr_write_b32 acc38, v15                     // 
v_accvgpr_write_b32 acc54, v16                     // 
v_accvgpr_read_b32 v5, acc69                       // glvw 12 mb 1 tt1 1 r 0
v_accvgpr_read_b32 v6, acc85                       // glvw 12 mb 1 tt1 1 r 0
v_accvgpr_read_b32 v7, acc101                      // glvw 12 mb 1 tt1 1 r 0
v_accvgpr_read_b32 v8, acc117                      // glvw 12 mb 1 tt1 1 r 0
v_accvgpr_read_b32 v9, acc70                       // glvw 12 mb 1 tt1 1 r 0
v_accvgpr_read_b32 v10, acc86                      // glvw 12 mb 1 tt1 1 r 0
v_accvgpr_read_b32 v11, acc102                     // glvw 12 mb 1 tt1 1 r 0
v_accvgpr_read_b32 v12, acc118                     // glvw 12 mb 1 tt1 1 r 0
v_accvgpr_read_b32 v13, acc71                      // glvw 12 mb 1 tt1 1 r 0
v_accvgpr_read_b32 v14, acc87                      // glvw 12 mb 1 tt1 1 r 0
v_accvgpr_read_b32 v15, acc103                     // glvw 12 mb 1 tt1 1 r 0
v_accvgpr_read_b32 v16, acc119                     // glvw 12 mb 1 tt1 1 r 0
s_nop 1                                            // v_accvgpr read vgpr after write vgpr: 2 wait states
v_accvgpr_write_b32 acc68, v5                      // 
v_accvgpr_write_b32 acc84, v6                      // 
v_accvgpr_write_b32 acc100, v7                     // 
v_accvgpr_write_b32 acc116, v8                     // 
v_accvgpr_write_b32 acc69, v9                      // 
v_accvgpr_write_b32 acc85, v10                     // 
v_accvgpr_write_b32 acc101, v11                    // 
v_accvgpr_write_b32 acc117, v12                    // 
v_accvgpr_write_b32 acc70, v13                     // 
v_accvgpr_write_b32 acc86, v14                     // 
v_accvgpr_write_b32 acc102, v15                    // 
v_accvgpr_write_b32 acc118, v16                    // 
v_accvgpr_read_b32 v5, acc133                      // glvw 12 mb 1 tt1 2 r 0
v_accvgpr_read_b32 v6, acc149                      // glvw 12 mb 1 tt1 2 r 0
v_accvgpr_read_b32 v7, acc165                      // glvw 12 mb 1 tt1 2 r 0
v_accvgpr_read_b32 v8, acc181                      // glvw 12 mb 1 tt1 2 r 0
v_accvgpr_read_b32 v9, acc134                      // glvw 12 mb 1 tt1 2 r 0
v_accvgpr_read_b32 v10, acc150                     // glvw 12 mb 1 tt1 2 r 0
v_accvgpr_read_b32 v11, acc166                     // glvw 12 mb 1 tt1 2 r 0
v_accvgpr_read_b32 v12, acc182                     // glvw 12 mb 1 tt1 2 r 0
v_accvgpr_read_b32 v13, acc135                     // glvw 12 mb 1 tt1 2 r 0
v_accvgpr_read_b32 v14, acc151                     // glvw 12 mb 1 tt1 2 r 0
v_accvgpr_read_b32 v15, acc167                     // glvw 12 mb 1 tt1 2 r 0
v_accvgpr_read_b32 v16, acc183                     // glvw 12 mb 1 tt1 2 r 0
s_nop 1                                            // v_accvgpr read vgpr after write vgpr: 2 wait states
v_accvgpr_write_b32 acc132, v5                     // 
v_accvgpr_write_b32 acc148, v6                     // 
v_accvgpr_write_b32 acc164, v7                     // 
v_accvgpr_write_b32 acc180, v8                     // 
v_accvgpr_write_b32 acc133, v9                     // 
v_accvgpr_write_b32 acc149, v10                    // 
v_accvgpr_write_b32 acc165, v11                    // 
v_accvgpr_write_b32 acc181, v12                    // 
v_accvgpr_write_b32 acc134, v13                    // 
v_accvgpr_write_b32 acc150, v14                    // 
v_accvgpr_write_b32 acc166, v15                    // 
v_accvgpr_write_b32 acc182, v16                    // 
v_accvgpr_read_b32 v5, acc197                      // glvw 12 mb 1 tt1 3 r 0
v_accvgpr_read_b32 v6, acc213                      // glvw 12 mb 1 tt1 3 r 0
v_accvgpr_read_b32 v7, acc229                      // glvw 12 mb 1 tt1 3 r 0
v_accvgpr_read_b32 v8, acc245                      // glvw 12 mb 1 tt1 3 r 0
v_accvgpr_read_b32 v9, acc198                      // glvw 12 mb 1 tt1 3 r 0
v_accvgpr_read_b32 v10, acc214                     // glvw 12 mb 1 tt1 3 r 0
v_accvgpr_read_b32 v11, acc230                     // glvw 12 mb 1 tt1 3 r 0
v_accvgpr_read_b32 v12, acc246                     // glvw 12 mb 1 tt1 3 r 0
v_accvgpr_read_b32 v13, acc199                     // glvw 12 mb 1 tt1 3 r 0
v_accvgpr_read_b32 v14, acc215                     // glvw 12 mb 1 tt1 3 r 0
v_accvgpr_read_b32 v15, acc231                     // glvw 12 mb 1 tt1 3 r 0
v_accvgpr_read_b32 v16, acc247                     // glvw 12 mb 1 tt1 3 r 0
s_nop 1                                            // v_accvgpr read vgpr after write vgpr: 2 wait states
v_accvgpr_write_b32 acc196, v5                     // 
v_accvgpr_write_b32 acc212, v6                     // 
v_accvgpr_write_b32 acc228, v7                     // 
v_accvgpr_write_b32 acc244, v8                     // 
v_accvgpr_write_b32 acc197, v9                     // 
v_accvgpr_write_b32 acc213, v10                    // 
v_accvgpr_write_b32 acc229, v11                    // 
v_accvgpr_write_b32 acc245, v12                    // 
v_accvgpr_write_b32 acc198, v13                    // 
v_accvgpr_write_b32 acc214, v14                    // 
v_accvgpr_write_b32 acc230, v15                    // 
v_accvgpr_write_b32 acc246, v16                    // 
s_mov_b64 s[42:43], 0xFFFFFFFFFFFFFFFF             // to restore all threads active
s_or_saveexec_b64 vcc, s[42:43]                    // all threads active
s_branch label_0168                                // done shifting


/******************************************/
/* shift d0 r=12 mb=2 vw0                 */
/******************************************/
label_0138: // r12 mb2 vw0 
s_mov_b32 s42, 4                                   // 
_v_cmpx_eq_u32 s[42:43], v4, s42                   // is thread in edge glvw region
v_and_b32 v0, 63, v[vgprSerial]                    // permute register between threads
v_lshlrev_b32 v0, 2, v0                            // permute register between threads
v_accvgpr_read_b32 v5, acc9                        // glvw 12 mb 2 tt1 0 r 0
v_accvgpr_read_b32 v6, acc25                       // glvw 12 mb 2 tt1 0 r 0
v_accvgpr_read_b32 v7, acc41                       // glvw 12 mb 2 tt1 0 r 0
v_accvgpr_read_b32 v8, acc57                       // glvw 12 mb 2 tt1 0 r 0
v_accvgpr_read_b32 v9, acc10                       // glvw 12 mb 2 tt1 0 r 0
v_accvgpr_read_b32 v10, acc26                      // glvw 12 mb 2 tt1 0 r 0
v_accvgpr_read_b32 v11, acc42                      // glvw 12 mb 2 tt1 0 r 0
v_accvgpr_read_b32 v12, acc58                      // glvw 12 mb 2 tt1 0 r 0
v_accvgpr_read_b32 v13, acc11                      // glvw 12 mb 2 tt1 0 r 0
v_accvgpr_read_b32 v14, acc27                      // glvw 12 mb 2 tt1 0 r 0
v_accvgpr_read_b32 v15, acc43                      // glvw 12 mb 2 tt1 0 r 0
v_accvgpr_read_b32 v16, acc59                      // glvw 12 mb 2 tt1 0 r 0
s_nop 1                                            // v_accvgpr read vgpr after write vgpr: 2 wait states
v_accvgpr_write_b32 acc8, v5                       // 
v_accvgpr_write_b32 acc24, v6                      // 
v_accvgpr_write_b32 acc40, v7                      // 
v_accvgpr_write_b32 acc56, v8                      // 
v_accvgpr_write_b32 acc9, v9                       // 
v_accvgpr_write_b32 acc25, v10                     // 
v_accvgpr_write_b32 acc41, v11                     // 
v_accvgpr_write_b32 acc57, v12                     // 
v_accvgpr_write_b32 acc10, v13                     // 
v_accvgpr_write_b32 acc26, v14                     // 
v_accvgpr_write_b32 acc42, v15                     // 
v_accvgpr_write_b32 acc58, v16                     // 
v_accvgpr_read_b32 v5, acc73                       // glvw 12 mb 2 tt1 1 r 0
v_accvgpr_read_b32 v6, acc89                       // glvw 12 mb 2 tt1 1 r 0
v_accvgpr_read_b32 v7, acc105                      // glvw 12 mb 2 tt1 1 r 0
v_accvgpr_read_b32 v8, acc121                      // glvw 12 mb 2 tt1 1 r 0
v_accvgpr_read_b32 v9, acc74                       // glvw 12 mb 2 tt1 1 r 0
v_accvgpr_read_b32 v10, acc90                      // glvw 12 mb 2 tt1 1 r 0
v_accvgpr_read_b32 v11, acc106                     // glvw 12 mb 2 tt1 1 r 0
v_accvgpr_read_b32 v12, acc122                     // glvw 12 mb 2 tt1 1 r 0
v_accvgpr_read_b32 v13, acc75                      // glvw 12 mb 2 tt1 1 r 0
v_accvgpr_read_b32 v14, acc91                      // glvw 12 mb 2 tt1 1 r 0
v_accvgpr_read_b32 v15, acc107                     // glvw 12 mb 2 tt1 1 r 0
v_accvgpr_read_b32 v16, acc123                     // glvw 12 mb 2 tt1 1 r 0
s_nop 1                                            // v_accvgpr read vgpr after write vgpr: 2 wait states
v_accvgpr_write_b32 acc72, v5                      // 
v_accvgpr_write_b32 acc88, v6                      // 
v_accvgpr_write_b32 acc104, v7                     // 
v_accvgpr_write_b32 acc120, v8                     // 
v_accvgpr_write_b32 acc73, v9                      // 
v_accvgpr_write_b32 acc89, v10                     // 
v_accvgpr_write_b32 acc105, v11                    // 
v_accvgpr_write_b32 acc121, v12                    // 
v_accvgpr_write_b32 acc74, v13                     // 
v_accvgpr_write_b32 acc90, v14                     // 
v_accvgpr_write_b32 acc106, v15                    // 
v_accvgpr_write_b32 acc122, v16                    // 
v_accvgpr_read_b32 v5, acc137                      // glvw 12 mb 2 tt1 2 r 0
v_accvgpr_read_b32 v6, acc153                      // glvw 12 mb 2 tt1 2 r 0
v_accvgpr_read_b32 v7, acc169                      // glvw 12 mb 2 tt1 2 r 0
v_accvgpr_read_b32 v8, acc185                      // glvw 12 mb 2 tt1 2 r 0
v_accvgpr_read_b32 v9, acc138                      // glvw 12 mb 2 tt1 2 r 0
v_accvgpr_read_b32 v10, acc154                     // glvw 12 mb 2 tt1 2 r 0
v_accvgpr_read_b32 v11, acc170                     // glvw 12 mb 2 tt1 2 r 0
v_accvgpr_read_b32 v12, acc186                     // glvw 12 mb 2 tt1 2 r 0
v_accvgpr_read_b32 v13, acc139                     // glvw 12 mb 2 tt1 2 r 0
v_accvgpr_read_b32 v14, acc155                     // glvw 12 mb 2 tt1 2 r 0
v_accvgpr_read_b32 v15, acc171                     // glvw 12 mb 2 tt1 2 r 0
v_accvgpr_read_b32 v16, acc187                     // glvw 12 mb 2 tt1 2 r 0
s_nop 1                                            // v_accvgpr read vgpr after write vgpr: 2 wait states
v_accvgpr_write_b32 acc136, v5                     // 
v_accvgpr_write_b32 acc152, v6                     // 
v_accvgpr_write_b32 acc168, v7                     // 
v_accvgpr_write_b32 acc184, v8                     // 
v_accvgpr_write_b32 acc137, v9                     // 
v_accvgpr_write_b32 acc153, v10                    // 
v_accvgpr_write_b32 acc169, v11                    // 
v_accvgpr_write_b32 acc185, v12                    // 
v_accvgpr_write_b32 acc138, v13                    // 
v_accvgpr_write_b32 acc154, v14                    // 
v_accvgpr_write_b32 acc170, v15                    // 
v_accvgpr_write_b32 acc186, v16                    // 
v_accvgpr_read_b32 v5, acc201                      // glvw 12 mb 2 tt1 3 r 0
v_accvgpr_read_b32 v6, acc217                      // glvw 12 mb 2 tt1 3 r 0
v_accvgpr_read_b32 v7, acc233                      // glvw 12 mb 2 tt1 3 r 0
v_accvgpr_read_b32 v8, acc249                      // glvw 12 mb 2 tt1 3 r 0
v_accvgpr_read_b32 v9, acc202                      // glvw 12 mb 2 tt1 3 r 0
v_accvgpr_read_b32 v10, acc218                     // glvw 12 mb 2 tt1 3 r 0
v_accvgpr_read_b32 v11, acc234                     // glvw 12 mb 2 tt1 3 r 0
v_accvgpr_read_b32 v12, acc250                     // glvw 12 mb 2 tt1 3 r 0
v_accvgpr_read_b32 v13, acc203                     // glvw 12 mb 2 tt1 3 r 0
v_accvgpr_read_b32 v14, acc219                     // glvw 12 mb 2 tt1 3 r 0
v_accvgpr_read_b32 v15, acc235                     // glvw 12 mb 2 tt1 3 r 0
v_accvgpr_read_b32 v16, acc251                     // glvw 12 mb 2 tt1 3 r 0
s_nop 1                                            // v_accvgpr read vgpr after write vgpr: 2 wait states
v_accvgpr_write_b32 acc200, v5                     // 
v_accvgpr_write_b32 acc216, v6                     // 
v_accvgpr_write_b32 acc232, v7                     // 
v_accvgpr_write_b32 acc248, v8                     // 
v_accvgpr_write_b32 acc201, v9                     // 
v_accvgpr_write_b32 acc217, v10                    // 
v_accvgpr_write_b32 acc233, v11                    // 
v_accvgpr_write_b32 acc249, v12                    // 
v_accvgpr_write_b32 acc202, v13                    // 
v_accvgpr_write_b32 acc218, v14                    // 
v_accvgpr_write_b32 acc234, v15                    // 
v_accvgpr_write_b32 acc250, v16                    // 
s_mov_b64 s[42:43], 0xFFFFFFFFFFFFFFFF             // to restore all threads active
s_or_saveexec_b64 vcc, s[42:43]                    // all threads active
s_branch label_0168                                // done shifting


/******************************************/
/* shift d0 r=12 mb=3 vw0                 */
/******************************************/
label_0140: // r12 mb3 vw0 
s_mov_b32 s42, 6                                   // 
_v_cmpx_eq_u32 s[42:43], v4, s42                   // is thread in edge glvw region
v_and_b32 v0, 63, v[vgprSerial]                    // permute register between threads
v_lshlrev_b32 v0, 2, v0                            // permute register between threads
v_accvgpr_read_b32 v5, acc13                       // glvw 12 mb 3 tt1 0 r 0
v_accvgpr_read_b32 v6, acc29                       // glvw 12 mb 3 tt1 0 r 0
v_accvgpr_read_b32 v7, acc45                       // glvw 12 mb 3 tt1 0 r 0
v_accvgpr_read_b32 v8, acc61                       // glvw 12 mb 3 tt1 0 r 0
v_accvgpr_read_b32 v9, acc14                       // glvw 12 mb 3 tt1 0 r 0
v_accvgpr_read_b32 v10, acc30                      // glvw 12 mb 3 tt1 0 r 0
v_accvgpr_read_b32 v11, acc46                      // glvw 12 mb 3 tt1 0 r 0
v_accvgpr_read_b32 v12, acc62                      // glvw 12 mb 3 tt1 0 r 0
v_accvgpr_read_b32 v13, acc15                      // glvw 12 mb 3 tt1 0 r 0
v_accvgpr_read_b32 v14, acc31                      // glvw 12 mb 3 tt1 0 r 0
v_accvgpr_read_b32 v15, acc47                      // glvw 12 mb 3 tt1 0 r 0
v_accvgpr_read_b32 v16, acc63                      // glvw 12 mb 3 tt1 0 r 0
s_nop 1                                            // v_accvgpr read vgpr after write vgpr: 2 wait states
v_accvgpr_write_b32 acc12, v5                      // 
v_accvgpr_write_b32 acc28, v6                      // 
v_accvgpr_write_b32 acc44, v7                      // 
v_accvgpr_write_b32 acc60, v8                      // 
v_accvgpr_write_b32 acc13, v9                      // 
v_accvgpr_write_b32 acc29, v10                     // 
v_accvgpr_write_b32 acc45, v11                     // 
v_accvgpr_write_b32 acc61, v12                     // 
v_accvgpr_write_b32 acc14, v13                     // 
v_accvgpr_write_b32 acc30, v14                     // 
v_accvgpr_write_b32 acc46, v15                     // 
v_accvgpr_write_b32 acc62, v16                     // 
v_accvgpr_read_b32 v5, acc77                       // glvw 12 mb 3 tt1 1 r 0
v_accvgpr_read_b32 v6, acc93                       // glvw 12 mb 3 tt1 1 r 0
v_accvgpr_read_b32 v7, acc109                      // glvw 12 mb 3 tt1 1 r 0
v_accvgpr_read_b32 v8, acc125                      // glvw 12 mb 3 tt1 1 r 0
v_accvgpr_read_b32 v9, acc78                       // glvw 12 mb 3 tt1 1 r 0
v_accvgpr_read_b32 v10, acc94                      // glvw 12 mb 3 tt1 1 r 0
v_accvgpr_read_b32 v11, acc110                     // glvw 12 mb 3 tt1 1 r 0
v_accvgpr_read_b32 v12, acc126                     // glvw 12 mb 3 tt1 1 r 0
v_accvgpr_read_b32 v13, acc79                      // glvw 12 mb 3 tt1 1 r 0
v_accvgpr_read_b32 v14, acc95                      // glvw 12 mb 3 tt1 1 r 0
v_accvgpr_read_b32 v15, acc111                     // glvw 12 mb 3 tt1 1 r 0
v_accvgpr_read_b32 v16, acc127                     // glvw 12 mb 3 tt1 1 r 0
s_nop 1                                            // v_accvgpr read vgpr after write vgpr: 2 wait states
v_accvgpr_write_b32 acc76, v5                      // 
v_accvgpr_write_b32 acc92, v6                      // 
v_accvgpr_write_b32 acc108, v7                     // 
v_accvgpr_write_b32 acc124, v8                     // 
v_accvgpr_write_b32 acc77, v9                      // 
v_accvgpr_write_b32 acc93, v10                     // 
v_accvgpr_write_b32 acc109, v11                    // 
v_accvgpr_write_b32 acc125, v12                    // 
v_accvgpr_write_b32 acc78, v13                     // 
v_accvgpr_write_b32 acc94, v14                     // 
v_accvgpr_write_b32 acc110, v15                    // 
v_accvgpr_write_b32 acc126, v16                    // 
v_accvgpr_read_b32 v5, acc141                      // glvw 12 mb 3 tt1 2 r 0
v_accvgpr_read_b32 v6, acc157                      // glvw 12 mb 3 tt1 2 r 0
v_accvgpr_read_b32 v7, acc173                      // glvw 12 mb 3 tt1 2 r 0
v_accvgpr_read_b32 v8, acc189                      // glvw 12 mb 3 tt1 2 r 0
v_accvgpr_read_b32 v9, acc142                      // glvw 12 mb 3 tt1 2 r 0
v_accvgpr_read_b32 v10, acc158                     // glvw 12 mb 3 tt1 2 r 0
v_accvgpr_read_b32 v11, acc174                     // glvw 12 mb 3 tt1 2 r 0
v_accvgpr_read_b32 v12, acc190                     // glvw 12 mb 3 tt1 2 r 0
v_accvgpr_read_b32 v13, acc143                     // glvw 12 mb 3 tt1 2 r 0
v_accvgpr_read_b32 v14, acc159                     // glvw 12 mb 3 tt1 2 r 0
v_accvgpr_read_b32 v15, acc175                     // glvw 12 mb 3 tt1 2 r 0
v_accvgpr_read_b32 v16, acc191                     // glvw 12 mb 3 tt1 2 r 0
s_nop 1                                            // v_accvgpr read vgpr after write vgpr: 2 wait states
v_accvgpr_write_b32 acc140, v5                     // 
v_accvgpr_write_b32 acc156, v6                     // 
v_accvgpr_write_b32 acc172, v7                     // 
v_accvgpr_write_b32 acc188, v8                     // 
v_accvgpr_write_b32 acc141, v9                     // 
v_accvgpr_write_b32 acc157, v10                    // 
v_accvgpr_write_b32 acc173, v11                    // 
v_accvgpr_write_b32 acc189, v12                    // 
v_accvgpr_write_b32 acc142, v13                    // 
v_accvgpr_write_b32 acc158, v14                    // 
v_accvgpr_write_b32 acc174, v15                    // 
v_accvgpr_write_b32 acc190, v16                    // 
v_accvgpr_read_b32 v5, acc205                      // glvw 12 mb 3 tt1 3 r 0
v_accvgpr_read_b32 v6, acc221                      // glvw 12 mb 3 tt1 3 r 0
v_accvgpr_read_b32 v7, acc237                      // glvw 12 mb 3 tt1 3 r 0
v_accvgpr_read_b32 v8, acc253                      // glvw 12 mb 3 tt1 3 r 0
v_accvgpr_read_b32 v9, acc206                      // glvw 12 mb 3 tt1 3 r 0
v_accvgpr_read_b32 v10, acc222                     // glvw 12 mb 3 tt1 3 r 0
v_accvgpr_read_b32 v11, acc238                     // glvw 12 mb 3 tt1 3 r 0
v_accvgpr_read_b32 v12, acc254                     // glvw 12 mb 3 tt1 3 r 0
v_accvgpr_read_b32 v13, acc207                     // glvw 12 mb 3 tt1 3 r 0
v_accvgpr_read_b32 v14, acc223                     // glvw 12 mb 3 tt1 3 r 0
v_accvgpr_read_b32 v15, acc239                     // glvw 12 mb 3 tt1 3 r 0
v_accvgpr_read_b32 v16, acc255                     // glvw 12 mb 3 tt1 3 r 0
s_nop 1                                            // v_accvgpr read vgpr after write vgpr: 2 wait states
v_accvgpr_write_b32 acc204, v5                     // 
v_accvgpr_write_b32 acc220, v6                     // 
v_accvgpr_write_b32 acc236, v7                     // 
v_accvgpr_write_b32 acc252, v8                     // 
v_accvgpr_write_b32 acc205, v9                     // 
v_accvgpr_write_b32 acc221, v10                    // 
v_accvgpr_write_b32 acc237, v11                    // 
v_accvgpr_write_b32 acc253, v12                    // 
v_accvgpr_write_b32 acc206, v13                    // 
v_accvgpr_write_b32 acc222, v14                    // 
v_accvgpr_write_b32 acc238, v15                    // 
v_accvgpr_write_b32 acc254, v16                    // 
s_mov_b64 s[42:43], 0xFFFFFFFFFFFFFFFF             // to restore all threads active
s_or_saveexec_b64 vcc, s[42:43]                    // all threads active
s_branch label_0168                                // done shifting


/******************************************/
/* shift d0 r=13 mb=0 vw0                 */
/******************************************/
label_0143: // r13 mb0 vw0 
s_mov_b32 s42, 0                                   // 
_v_cmpx_eq_u32 s[42:43], v4, s42                   // is thread in edge glvw region
v_and_b32 v0, 63, v[vgprSerial]                    // permute register between threads
v_lshlrev_b32 v0, 2, v0                            // permute register between threads
v_accvgpr_read_b32 v5, acc48                       // glvw 13 mb 0 tt1 0 r 0
v_accvgpr_read_b32 v6, acc1                        // glvw 13 mb 0 tt1 0 r 0
v_accvgpr_read_b32 v7, acc17                       // glvw 13 mb 0 tt1 0 r 0
v_accvgpr_read_b32 v8, acc33                       // glvw 13 mb 0 tt1 0 r 0
v_accvgpr_read_b32 v9, acc49                       // glvw 13 mb 0 tt1 0 r 0
v_accvgpr_read_b32 v10, acc2                       // glvw 13 mb 0 tt1 0 r 0
v_accvgpr_read_b32 v11, acc18                      // glvw 13 mb 0 tt1 0 r 0
v_accvgpr_read_b32 v12, acc34                      // glvw 13 mb 0 tt1 0 r 0
v_accvgpr_read_b32 v13, acc50                      // glvw 13 mb 0 tt1 0 r 0
v_accvgpr_read_b32 v14, acc3                       // glvw 13 mb 0 tt1 0 r 0
v_accvgpr_read_b32 v15, acc19                      // glvw 13 mb 0 tt1 0 r 0
v_accvgpr_read_b32 v16, acc35                      // glvw 13 mb 0 tt1 0 r 0
v_accvgpr_read_b32 v17, acc51                      // glvw 13 mb 0 tt1 0 r 0
s_nop 1                                            // v_accvgpr read vgpr after write vgpr: 2 wait states
v_accvgpr_write_b32 acc0, v5                       // 
v_accvgpr_write_b32 acc16, v6                      // 
v_accvgpr_write_b32 acc32, v7                      // 
v_accvgpr_write_b32 acc48, v8                      // 
v_accvgpr_write_b32 acc1, v9                       // 
v_accvgpr_write_b32 acc17, v10                     // 
v_accvgpr_write_b32 acc33, v11                     // 
v_accvgpr_write_b32 acc49, v12                     // 
v_accvgpr_write_b32 acc2, v13                      // 
v_accvgpr_write_b32 acc18, v14                     // 
v_accvgpr_write_b32 acc34, v15                     // 
v_accvgpr_write_b32 acc50, v16                     // 
v_accvgpr_write_b32 acc3, v17                      // 
v_accvgpr_read_b32 v5, acc112                      // glvw 13 mb 0 tt1 1 r 0
v_accvgpr_read_b32 v6, acc65                       // glvw 13 mb 0 tt1 1 r 0
v_accvgpr_read_b32 v7, acc81                       // glvw 13 mb 0 tt1 1 r 0
v_accvgpr_read_b32 v8, acc97                       // glvw 13 mb 0 tt1 1 r 0
v_accvgpr_read_b32 v9, acc113                      // glvw 13 mb 0 tt1 1 r 0
v_accvgpr_read_b32 v10, acc66                      // glvw 13 mb 0 tt1 1 r 0
v_accvgpr_read_b32 v11, acc82                      // glvw 13 mb 0 tt1 1 r 0
v_accvgpr_read_b32 v12, acc98                      // glvw 13 mb 0 tt1 1 r 0
v_accvgpr_read_b32 v13, acc114                     // glvw 13 mb 0 tt1 1 r 0
v_accvgpr_read_b32 v14, acc67                      // glvw 13 mb 0 tt1 1 r 0
v_accvgpr_read_b32 v15, acc83                      // glvw 13 mb 0 tt1 1 r 0
v_accvgpr_read_b32 v16, acc99                      // glvw 13 mb 0 tt1 1 r 0
v_accvgpr_read_b32 v17, acc115                     // glvw 13 mb 0 tt1 1 r 0
s_nop 1                                            // v_accvgpr read vgpr after write vgpr: 2 wait states
v_accvgpr_write_b32 acc64, v5                      // 
v_accvgpr_write_b32 acc80, v6                      // 
v_accvgpr_write_b32 acc96, v7                      // 
v_accvgpr_write_b32 acc112, v8                     // 
v_accvgpr_write_b32 acc65, v9                      // 
v_accvgpr_write_b32 acc81, v10                     // 
v_accvgpr_write_b32 acc97, v11                     // 
v_accvgpr_write_b32 acc113, v12                    // 
v_accvgpr_write_b32 acc66, v13                     // 
v_accvgpr_write_b32 acc82, v14                     // 
v_accvgpr_write_b32 acc98, v15                     // 
v_accvgpr_write_b32 acc114, v16                    // 
v_accvgpr_write_b32 acc67, v17                     // 
v_accvgpr_read_b32 v5, acc176                      // glvw 13 mb 0 tt1 2 r 0
v_accvgpr_read_b32 v6, acc129                      // glvw 13 mb 0 tt1 2 r 0
v_accvgpr_read_b32 v7, acc145                      // glvw 13 mb 0 tt1 2 r 0
v_accvgpr_read_b32 v8, acc161                      // glvw 13 mb 0 tt1 2 r 0
v_accvgpr_read_b32 v9, acc177                      // glvw 13 mb 0 tt1 2 r 0
v_accvgpr_read_b32 v10, acc130                     // glvw 13 mb 0 tt1 2 r 0
v_accvgpr_read_b32 v11, acc146                     // glvw 13 mb 0 tt1 2 r 0
v_accvgpr_read_b32 v12, acc162                     // glvw 13 mb 0 tt1 2 r 0
v_accvgpr_read_b32 v13, acc178                     // glvw 13 mb 0 tt1 2 r 0
v_accvgpr_read_b32 v14, acc131                     // glvw 13 mb 0 tt1 2 r 0
v_accvgpr_read_b32 v15, acc147                     // glvw 13 mb 0 tt1 2 r 0
v_accvgpr_read_b32 v16, acc163                     // glvw 13 mb 0 tt1 2 r 0
v_accvgpr_read_b32 v17, acc179                     // glvw 13 mb 0 tt1 2 r 0
s_nop 1                                            // v_accvgpr read vgpr after write vgpr: 2 wait states
v_accvgpr_write_b32 acc128, v5                     // 
v_accvgpr_write_b32 acc144, v6                     // 
v_accvgpr_write_b32 acc160, v7                     // 
v_accvgpr_write_b32 acc176, v8                     // 
v_accvgpr_write_b32 acc129, v9                     // 
v_accvgpr_write_b32 acc145, v10                    // 
v_accvgpr_write_b32 acc161, v11                    // 
v_accvgpr_write_b32 acc177, v12                    // 
v_accvgpr_write_b32 acc130, v13                    // 
v_accvgpr_write_b32 acc146, v14                    // 
v_accvgpr_write_b32 acc162, v15                    // 
v_accvgpr_write_b32 acc178, v16                    // 
v_accvgpr_write_b32 acc131, v17                    // 
v_accvgpr_read_b32 v5, acc240                      // glvw 13 mb 0 tt1 3 r 0
v_accvgpr_read_b32 v6, acc193                      // glvw 13 mb 0 tt1 3 r 0
v_accvgpr_read_b32 v7, acc209                      // glvw 13 mb 0 tt1 3 r 0
v_accvgpr_read_b32 v8, acc225                      // glvw 13 mb 0 tt1 3 r 0
v_accvgpr_read_b32 v9, acc241                      // glvw 13 mb 0 tt1 3 r 0
v_accvgpr_read_b32 v10, acc194                     // glvw 13 mb 0 tt1 3 r 0
v_accvgpr_read_b32 v11, acc210                     // glvw 13 mb 0 tt1 3 r 0
v_accvgpr_read_b32 v12, acc226                     // glvw 13 mb 0 tt1 3 r 0
v_accvgpr_read_b32 v13, acc242                     // glvw 13 mb 0 tt1 3 r 0
v_accvgpr_read_b32 v14, acc195                     // glvw 13 mb 0 tt1 3 r 0
v_accvgpr_read_b32 v15, acc211                     // glvw 13 mb 0 tt1 3 r 0
v_accvgpr_read_b32 v16, acc227                     // glvw 13 mb 0 tt1 3 r 0
v_accvgpr_read_b32 v17, acc243                     // glvw 13 mb 0 tt1 3 r 0
s_nop 1                                            // v_accvgpr read vgpr after write vgpr: 2 wait states
v_accvgpr_write_b32 acc192, v5                     // 
v_accvgpr_write_b32 acc208, v6                     // 
v_accvgpr_write_b32 acc224, v7                     // 
v_accvgpr_write_b32 acc240, v8                     // 
v_accvgpr_write_b32 acc193, v9                     // 
v_accvgpr_write_b32 acc209, v10                    // 
v_accvgpr_write_b32 acc225, v11                    // 
v_accvgpr_write_b32 acc241, v12                    // 
v_accvgpr_write_b32 acc194, v13                    // 
v_accvgpr_write_b32 acc210, v14                    // 
v_accvgpr_write_b32 acc226, v15                    // 
v_accvgpr_write_b32 acc242, v16                    // 
v_accvgpr_write_b32 acc195, v17                    // 
s_mov_b64 s[42:43], 0xFFFFFFFFFFFFFFFF             // to restore all threads active
s_or_saveexec_b64 vcc, s[42:43]                    // all threads active
s_branch label_0168                                // done shifting


/******************************************/
/* shift d0 r=13 mb=1 vw0                 */
/******************************************/
label_0145: // r13 mb1 vw0 
s_mov_b32 s42, 2                                   // 
_v_cmpx_eq_u32 s[42:43], v4, s42                   // is thread in edge glvw region
v_and_b32 v0, 63, v[vgprSerial]                    // permute register between threads
v_lshlrev_b32 v0, 2, v0                            // permute register between threads
v_accvgpr_read_b32 v5, acc52                       // glvw 13 mb 1 tt1 0 r 0
v_accvgpr_read_b32 v6, acc5                        // glvw 13 mb 1 tt1 0 r 0
v_accvgpr_read_b32 v7, acc21                       // glvw 13 mb 1 tt1 0 r 0
v_accvgpr_read_b32 v8, acc37                       // glvw 13 mb 1 tt1 0 r 0
v_accvgpr_read_b32 v9, acc53                       // glvw 13 mb 1 tt1 0 r 0
v_accvgpr_read_b32 v10, acc6                       // glvw 13 mb 1 tt1 0 r 0
v_accvgpr_read_b32 v11, acc22                      // glvw 13 mb 1 tt1 0 r 0
v_accvgpr_read_b32 v12, acc38                      // glvw 13 mb 1 tt1 0 r 0
v_accvgpr_read_b32 v13, acc54                      // glvw 13 mb 1 tt1 0 r 0
v_accvgpr_read_b32 v14, acc7                       // glvw 13 mb 1 tt1 0 r 0
v_accvgpr_read_b32 v15, acc23                      // glvw 13 mb 1 tt1 0 r 0
v_accvgpr_read_b32 v16, acc39                      // glvw 13 mb 1 tt1 0 r 0
v_accvgpr_read_b32 v17, acc55                      // glvw 13 mb 1 tt1 0 r 0
s_nop 1                                            // v_accvgpr read vgpr after write vgpr: 2 wait states
v_accvgpr_write_b32 acc4, v5                       // 
v_accvgpr_write_b32 acc20, v6                      // 
v_accvgpr_write_b32 acc36, v7                      // 
v_accvgpr_write_b32 acc52, v8                      // 
v_accvgpr_write_b32 acc5, v9                       // 
v_accvgpr_write_b32 acc21, v10                     // 
v_accvgpr_write_b32 acc37, v11                     // 
v_accvgpr_write_b32 acc53, v12                     // 
v_accvgpr_write_b32 acc6, v13                      // 
v_accvgpr_write_b32 acc22, v14                     // 
v_accvgpr_write_b32 acc38, v15                     // 
v_accvgpr_write_b32 acc54, v16                     // 
v_accvgpr_write_b32 acc7, v17                      // 
v_accvgpr_read_b32 v5, acc116                      // glvw 13 mb 1 tt1 1 r 0
v_accvgpr_read_b32 v6, acc69                       // glvw 13 mb 1 tt1 1 r 0
v_accvgpr_read_b32 v7, acc85                       // glvw 13 mb 1 tt1 1 r 0
v_accvgpr_read_b32 v8, acc101                      // glvw 13 mb 1 tt1 1 r 0
v_accvgpr_read_b32 v9, acc117                      // glvw 13 mb 1 tt1 1 r 0
v_accvgpr_read_b32 v10, acc70                      // glvw 13 mb 1 tt1 1 r 0
v_accvgpr_read_b32 v11, acc86                      // glvw 13 mb 1 tt1 1 r 0
v_accvgpr_read_b32 v12, acc102                     // glvw 13 mb 1 tt1 1 r 0
v_accvgpr_read_b32 v13, acc118                     // glvw 13 mb 1 tt1 1 r 0
v_accvgpr_read_b32 v14, acc71                      // glvw 13 mb 1 tt1 1 r 0
v_accvgpr_read_b32 v15, acc87                      // glvw 13 mb 1 tt1 1 r 0
v_accvgpr_read_b32 v16, acc103                     // glvw 13 mb 1 tt1 1 r 0
v_accvgpr_read_b32 v17, acc119                     // glvw 13 mb 1 tt1 1 r 0
s_nop 1                                            // v_accvgpr read vgpr after write vgpr: 2 wait states
v_accvgpr_write_b32 acc68, v5                      // 
v_accvgpr_write_b32 acc84, v6                      // 
v_accvgpr_write_b32 acc100, v7                     // 
v_accvgpr_write_b32 acc116, v8                     // 
v_accvgpr_write_b32 acc69, v9                      // 
v_accvgpr_write_b32 acc85, v10                     // 
v_accvgpr_write_b32 acc101, v11                    // 
v_accvgpr_write_b32 acc117, v12                    // 
v_accvgpr_write_b32 acc70, v13                     // 
v_accvgpr_write_b32 acc86, v14                     // 
v_accvgpr_write_b32 acc102, v15                    // 
v_accvgpr_write_b32 acc118, v16                    // 
v_accvgpr_write_b32 acc71, v17                     // 
v_accvgpr_read_b32 v5, acc180                      // glvw 13 mb 1 tt1 2 r 0
v_accvgpr_read_b32 v6, acc133                      // glvw 13 mb 1 tt1 2 r 0
v_accvgpr_read_b32 v7, acc149                      // glvw 13 mb 1 tt1 2 r 0
v_accvgpr_read_b32 v8, acc165                      // glvw 13 mb 1 tt1 2 r 0
v_accvgpr_read_b32 v9, acc181                      // glvw 13 mb 1 tt1 2 r 0
v_accvgpr_read_b32 v10, acc134                     // glvw 13 mb 1 tt1 2 r 0
v_accvgpr_read_b32 v11, acc150                     // glvw 13 mb 1 tt1 2 r 0
v_accvgpr_read_b32 v12, acc166                     // glvw 13 mb 1 tt1 2 r 0
v_accvgpr_read_b32 v13, acc182                     // glvw 13 mb 1 tt1 2 r 0
v_accvgpr_read_b32 v14, acc135                     // glvw 13 mb 1 tt1 2 r 0
v_accvgpr_read_b32 v15, acc151                     // glvw 13 mb 1 tt1 2 r 0
v_accvgpr_read_b32 v16, acc167                     // glvw 13 mb 1 tt1 2 r 0
v_accvgpr_read_b32 v17, acc183                     // glvw 13 mb 1 tt1 2 r 0
s_nop 1                                            // v_accvgpr read vgpr after write vgpr: 2 wait states
v_accvgpr_write_b32 acc132, v5                     // 
v_accvgpr_write_b32 acc148, v6                     // 
v_accvgpr_write_b32 acc164, v7                     // 
v_accvgpr_write_b32 acc180, v8                     // 
v_accvgpr_write_b32 acc133, v9                     // 
v_accvgpr_write_b32 acc149, v10                    // 
v_accvgpr_write_b32 acc165, v11                    // 
v_accvgpr_write_b32 acc181, v12                    // 
v_accvgpr_write_b32 acc134, v13                    // 
v_accvgpr_write_b32 acc150, v14                    // 
v_accvgpr_write_b32 acc166, v15                    // 
v_accvgpr_write_b32 acc182, v16                    // 
v_accvgpr_write_b32 acc135, v17                    // 
v_accvgpr_read_b32 v5, acc244                      // glvw 13 mb 1 tt1 3 r 0
v_accvgpr_read_b32 v6, acc197                      // glvw 13 mb 1 tt1 3 r 0
v_accvgpr_read_b32 v7, acc213                      // glvw 13 mb 1 tt1 3 r 0
v_accvgpr_read_b32 v8, acc229                      // glvw 13 mb 1 tt1 3 r 0
v_accvgpr_read_b32 v9, acc245                      // glvw 13 mb 1 tt1 3 r 0
v_accvgpr_read_b32 v10, acc198                     // glvw 13 mb 1 tt1 3 r 0
v_accvgpr_read_b32 v11, acc214                     // glvw 13 mb 1 tt1 3 r 0
v_accvgpr_read_b32 v12, acc230                     // glvw 13 mb 1 tt1 3 r 0
v_accvgpr_read_b32 v13, acc246                     // glvw 13 mb 1 tt1 3 r 0
v_accvgpr_read_b32 v14, acc199                     // glvw 13 mb 1 tt1 3 r 0
v_accvgpr_read_b32 v15, acc215                     // glvw 13 mb 1 tt1 3 r 0
v_accvgpr_read_b32 v16, acc231                     // glvw 13 mb 1 tt1 3 r 0
v_accvgpr_read_b32 v17, acc247                     // glvw 13 mb 1 tt1 3 r 0
s_nop 1                                            // v_accvgpr read vgpr after write vgpr: 2 wait states
v_accvgpr_write_b32 acc196, v5                     // 
v_accvgpr_write_b32 acc212, v6                     // 
v_accvgpr_write_b32 acc228, v7                     // 
v_accvgpr_write_b32 acc244, v8                     // 
v_accvgpr_write_b32 acc197, v9                     // 
v_accvgpr_write_b32 acc213, v10                    // 
v_accvgpr_write_b32 acc229, v11                    // 
v_accvgpr_write_b32 acc245, v12                    // 
v_accvgpr_write_b32 acc198, v13                    // 
v_accvgpr_write_b32 acc214, v14                    // 
v_accvgpr_write_b32 acc230, v15                    // 
v_accvgpr_write_b32 acc246, v16                    // 
v_accvgpr_write_b32 acc199, v17                    // 
s_mov_b64 s[42:43], 0xFFFFFFFFFFFFFFFF             // to restore all threads active
s_or_saveexec_b64 vcc, s[42:43]                    // all threads active
s_branch label_0168                                // done shifting


/******************************************/
/* shift d0 r=13 mb=2 vw0                 */
/******************************************/
label_0147: // r13 mb2 vw0 
s_mov_b32 s42, 4                                   // 
_v_cmpx_eq_u32 s[42:43], v4, s42                   // is thread in edge glvw region
v_and_b32 v0, 63, v[vgprSerial]                    // permute register between threads
v_lshlrev_b32 v0, 2, v0                            // permute register between threads
v_accvgpr_read_b32 v5, acc56                       // glvw 13 mb 2 tt1 0 r 0
v_accvgpr_read_b32 v6, acc9                        // glvw 13 mb 2 tt1 0 r 0
v_accvgpr_read_b32 v7, acc25                       // glvw 13 mb 2 tt1 0 r 0
v_accvgpr_read_b32 v8, acc41                       // glvw 13 mb 2 tt1 0 r 0
v_accvgpr_read_b32 v9, acc57                       // glvw 13 mb 2 tt1 0 r 0
v_accvgpr_read_b32 v10, acc10                      // glvw 13 mb 2 tt1 0 r 0
v_accvgpr_read_b32 v11, acc26                      // glvw 13 mb 2 tt1 0 r 0
v_accvgpr_read_b32 v12, acc42                      // glvw 13 mb 2 tt1 0 r 0
v_accvgpr_read_b32 v13, acc58                      // glvw 13 mb 2 tt1 0 r 0
v_accvgpr_read_b32 v14, acc11                      // glvw 13 mb 2 tt1 0 r 0
v_accvgpr_read_b32 v15, acc27                      // glvw 13 mb 2 tt1 0 r 0
v_accvgpr_read_b32 v16, acc43                      // glvw 13 mb 2 tt1 0 r 0
v_accvgpr_read_b32 v17, acc59                      // glvw 13 mb 2 tt1 0 r 0
s_nop 1                                            // v_accvgpr read vgpr after write vgpr: 2 wait states
v_accvgpr_write_b32 acc8, v5                       // 
v_accvgpr_write_b32 acc24, v6                      // 
v_accvgpr_write_b32 acc40, v7                      // 
v_accvgpr_write_b32 acc56, v8                      // 
v_accvgpr_write_b32 acc9, v9                       // 
v_accvgpr_write_b32 acc25, v10                     // 
v_accvgpr_write_b32 acc41, v11                     // 
v_accvgpr_write_b32 acc57, v12                     // 
v_accvgpr_write_b32 acc10, v13                     // 
v_accvgpr_write_b32 acc26, v14                     // 
v_accvgpr_write_b32 acc42, v15                     // 
v_accvgpr_write_b32 acc58, v16                     // 
v_accvgpr_write_b32 acc11, v17                     // 
v_accvgpr_read_b32 v5, acc120                      // glvw 13 mb 2 tt1 1 r 0
v_accvgpr_read_b32 v6, acc73                       // glvw 13 mb 2 tt1 1 r 0
v_accvgpr_read_b32 v7, acc89                       // glvw 13 mb 2 tt1 1 r 0
v_accvgpr_read_b32 v8, acc105                      // glvw 13 mb 2 tt1 1 r 0
v_accvgpr_read_b32 v9, acc121                      // glvw 13 mb 2 tt1 1 r 0
v_accvgpr_read_b32 v10, acc74                      // glvw 13 mb 2 tt1 1 r 0
v_accvgpr_read_b32 v11, acc90                      // glvw 13 mb 2 tt1 1 r 0
v_accvgpr_read_b32 v12, acc106                     // glvw 13 mb 2 tt1 1 r 0
v_accvgpr_read_b32 v13, acc122                     // glvw 13 mb 2 tt1 1 r 0
v_accvgpr_read_b32 v14, acc75                      // glvw 13 mb 2 tt1 1 r 0
v_accvgpr_read_b32 v15, acc91                      // glvw 13 mb 2 tt1 1 r 0
v_accvgpr_read_b32 v16, acc107                     // glvw 13 mb 2 tt1 1 r 0
v_accvgpr_read_b32 v17, acc123                     // glvw 13 mb 2 tt1 1 r 0
s_nop 1                                            // v_accvgpr read vgpr after write vgpr: 2 wait states
v_accvgpr_write_b32 acc72, v5                      // 
v_accvgpr_write_b32 acc88, v6                      // 
v_accvgpr_write_b32 acc104, v7                     // 
v_accvgpr_write_b32 acc120, v8                     // 
v_accvgpr_write_b32 acc73, v9                      // 
v_accvgpr_write_b32 acc89, v10                     // 
v_accvgpr_write_b32 acc105, v11                    // 
v_accvgpr_write_b32 acc121, v12                    // 
v_accvgpr_write_b32 acc74, v13                     // 
v_accvgpr_write_b32 acc90, v14                     // 
v_accvgpr_write_b32 acc106, v15                    // 
v_accvgpr_write_b32 acc122, v16                    // 
v_accvgpr_write_b32 acc75, v17                     // 
v_accvgpr_read_b32 v5, acc184                      // glvw 13 mb 2 tt1 2 r 0
v_accvgpr_read_b32 v6, acc137                      // glvw 13 mb 2 tt1 2 r 0
v_accvgpr_read_b32 v7, acc153                      // glvw 13 mb 2 tt1 2 r 0
v_accvgpr_read_b32 v8, acc169                      // glvw 13 mb 2 tt1 2 r 0
v_accvgpr_read_b32 v9, acc185                      // glvw 13 mb 2 tt1 2 r 0
v_accvgpr_read_b32 v10, acc138                     // glvw 13 mb 2 tt1 2 r 0
v_accvgpr_read_b32 v11, acc154                     // glvw 13 mb 2 tt1 2 r 0
v_accvgpr_read_b32 v12, acc170                     // glvw 13 mb 2 tt1 2 r 0
v_accvgpr_read_b32 v13, acc186                     // glvw 13 mb 2 tt1 2 r 0
v_accvgpr_read_b32 v14, acc139                     // glvw 13 mb 2 tt1 2 r 0
v_accvgpr_read_b32 v15, acc155                     // glvw 13 mb 2 tt1 2 r 0
v_accvgpr_read_b32 v16, acc171                     // glvw 13 mb 2 tt1 2 r 0
v_accvgpr_read_b32 v17, acc187                     // glvw 13 mb 2 tt1 2 r 0
s_nop 1                                            // v_accvgpr read vgpr after write vgpr: 2 wait states
v_accvgpr_write_b32 acc136, v5                     // 
v_accvgpr_write_b32 acc152, v6                     // 
v_accvgpr_write_b32 acc168, v7                     // 
v_accvgpr_write_b32 acc184, v8                     // 
v_accvgpr_write_b32 acc137, v9                     // 
v_accvgpr_write_b32 acc153, v10                    // 
v_accvgpr_write_b32 acc169, v11                    // 
v_accvgpr_write_b32 acc185, v12                    // 
v_accvgpr_write_b32 acc138, v13                    // 
v_accvgpr_write_b32 acc154, v14                    // 
v_accvgpr_write_b32 acc170, v15                    // 
v_accvgpr_write_b32 acc186, v16                    // 
v_accvgpr_write_b32 acc139, v17                    // 
v_accvgpr_read_b32 v5, acc248                      // glvw 13 mb 2 tt1 3 r 0
v_accvgpr_read_b32 v6, acc201                      // glvw 13 mb 2 tt1 3 r 0
v_accvgpr_read_b32 v7, acc217                      // glvw 13 mb 2 tt1 3 r 0
v_accvgpr_read_b32 v8, acc233                      // glvw 13 mb 2 tt1 3 r 0
v_accvgpr_read_b32 v9, acc249                      // glvw 13 mb 2 tt1 3 r 0
v_accvgpr_read_b32 v10, acc202                     // glvw 13 mb 2 tt1 3 r 0
v_accvgpr_read_b32 v11, acc218                     // glvw 13 mb 2 tt1 3 r 0
v_accvgpr_read_b32 v12, acc234                     // glvw 13 mb 2 tt1 3 r 0
v_accvgpr_read_b32 v13, acc250                     // glvw 13 mb 2 tt1 3 r 0
v_accvgpr_read_b32 v14, acc203                     // glvw 13 mb 2 tt1 3 r 0
v_accvgpr_read_b32 v15, acc219                     // glvw 13 mb 2 tt1 3 r 0
v_accvgpr_read_b32 v16, acc235                     // glvw 13 mb 2 tt1 3 r 0
v_accvgpr_read_b32 v17, acc251                     // glvw 13 mb 2 tt1 3 r 0
s_nop 1                                            // v_accvgpr read vgpr after write vgpr: 2 wait states
v_accvgpr_write_b32 acc200, v5                     // 
v_accvgpr_write_b32 acc216, v6                     // 
v_accvgpr_write_b32 acc232, v7                     // 
v_accvgpr_write_b32 acc248, v8                     // 
v_accvgpr_write_b32 acc201, v9                     // 
v_accvgpr_write_b32 acc217, v10                    // 
v_accvgpr_write_b32 acc233, v11                    // 
v_accvgpr_write_b32 acc249, v12                    // 
v_accvgpr_write_b32 acc202, v13                    // 
v_accvgpr_write_b32 acc218, v14                    // 
v_accvgpr_write_b32 acc234, v15                    // 
v_accvgpr_write_b32 acc250, v16                    // 
v_accvgpr_write_b32 acc203, v17                    // 
s_mov_b64 s[42:43], 0xFFFFFFFFFFFFFFFF             // to restore all threads active
s_or_saveexec_b64 vcc, s[42:43]                    // all threads active
s_branch label_0168                                // done shifting


/******************************************/
/* shift d0 r=13 mb=3 vw0                 */
/******************************************/
label_0149: // r13 mb3 vw0 
s_mov_b32 s42, 6                                   // 
_v_cmpx_eq_u32 s[42:43], v4, s42                   // is thread in edge glvw region
v_and_b32 v0, 63, v[vgprSerial]                    // permute register between threads
v_lshlrev_b32 v0, 2, v0                            // permute register between threads
v_accvgpr_read_b32 v5, acc60                       // glvw 13 mb 3 tt1 0 r 0
v_accvgpr_read_b32 v6, acc13                       // glvw 13 mb 3 tt1 0 r 0
v_accvgpr_read_b32 v7, acc29                       // glvw 13 mb 3 tt1 0 r 0
v_accvgpr_read_b32 v8, acc45                       // glvw 13 mb 3 tt1 0 r 0
v_accvgpr_read_b32 v9, acc61                       // glvw 13 mb 3 tt1 0 r 0
v_accvgpr_read_b32 v10, acc14                      // glvw 13 mb 3 tt1 0 r 0
v_accvgpr_read_b32 v11, acc30                      // glvw 13 mb 3 tt1 0 r 0
v_accvgpr_read_b32 v12, acc46                      // glvw 13 mb 3 tt1 0 r 0
v_accvgpr_read_b32 v13, acc62                      // glvw 13 mb 3 tt1 0 r 0
v_accvgpr_read_b32 v14, acc15                      // glvw 13 mb 3 tt1 0 r 0
v_accvgpr_read_b32 v15, acc31                      // glvw 13 mb 3 tt1 0 r 0
v_accvgpr_read_b32 v16, acc47                      // glvw 13 mb 3 tt1 0 r 0
v_accvgpr_read_b32 v17, acc63                      // glvw 13 mb 3 tt1 0 r 0
s_nop 1                                            // v_accvgpr read vgpr after write vgpr: 2 wait states
v_accvgpr_write_b32 acc12, v5                      // 
v_accvgpr_write_b32 acc28, v6                      // 
v_accvgpr_write_b32 acc44, v7                      // 
v_accvgpr_write_b32 acc60, v8                      // 
v_accvgpr_write_b32 acc13, v9                      // 
v_accvgpr_write_b32 acc29, v10                     // 
v_accvgpr_write_b32 acc45, v11                     // 
v_accvgpr_write_b32 acc61, v12                     // 
v_accvgpr_write_b32 acc14, v13                     // 
v_accvgpr_write_b32 acc30, v14                     // 
v_accvgpr_write_b32 acc46, v15                     // 
v_accvgpr_write_b32 acc62, v16                     // 
v_accvgpr_write_b32 acc15, v17                     // 
v_accvgpr_read_b32 v5, acc124                      // glvw 13 mb 3 tt1 1 r 0
v_accvgpr_read_b32 v6, acc77                       // glvw 13 mb 3 tt1 1 r 0
v_accvgpr_read_b32 v7, acc93                       // glvw 13 mb 3 tt1 1 r 0
v_accvgpr_read_b32 v8, acc109                      // glvw 13 mb 3 tt1 1 r 0
v_accvgpr_read_b32 v9, acc125                      // glvw 13 mb 3 tt1 1 r 0
v_accvgpr_read_b32 v10, acc78                      // glvw 13 mb 3 tt1 1 r 0
v_accvgpr_read_b32 v11, acc94                      // glvw 13 mb 3 tt1 1 r 0
v_accvgpr_read_b32 v12, acc110                     // glvw 13 mb 3 tt1 1 r 0
v_accvgpr_read_b32 v13, acc126                     // glvw 13 mb 3 tt1 1 r 0
v_accvgpr_read_b32 v14, acc79                      // glvw 13 mb 3 tt1 1 r 0
v_accvgpr_read_b32 v15, acc95                      // glvw 13 mb 3 tt1 1 r 0
v_accvgpr_read_b32 v16, acc111                     // glvw 13 mb 3 tt1 1 r 0
v_accvgpr_read_b32 v17, acc127                     // glvw 13 mb 3 tt1 1 r 0
s_nop 1                                            // v_accvgpr read vgpr after write vgpr: 2 wait states
v_accvgpr_write_b32 acc76, v5                      // 
v_accvgpr_write_b32 acc92, v6                      // 
v_accvgpr_write_b32 acc108, v7                     // 
v_accvgpr_write_b32 acc124, v8                     // 
v_accvgpr_write_b32 acc77, v9                      // 
v_accvgpr_write_b32 acc93, v10                     // 
v_accvgpr_write_b32 acc109, v11                    // 
v_accvgpr_write_b32 acc125, v12                    // 
v_accvgpr_write_b32 acc78, v13                     // 
v_accvgpr_write_b32 acc94, v14                     // 
v_accvgpr_write_b32 acc110, v15                    // 
v_accvgpr_write_b32 acc126, v16                    // 
v_accvgpr_write_b32 acc79, v17                     // 
v_accvgpr_read_b32 v5, acc188                      // glvw 13 mb 3 tt1 2 r 0
v_accvgpr_read_b32 v6, acc141                      // glvw 13 mb 3 tt1 2 r 0
v_accvgpr_read_b32 v7, acc157                      // glvw 13 mb 3 tt1 2 r 0
v_accvgpr_read_b32 v8, acc173                      // glvw 13 mb 3 tt1 2 r 0
v_accvgpr_read_b32 v9, acc189                      // glvw 13 mb 3 tt1 2 r 0
v_accvgpr_read_b32 v10, acc142                     // glvw 13 mb 3 tt1 2 r 0
v_accvgpr_read_b32 v11, acc158                     // glvw 13 mb 3 tt1 2 r 0
v_accvgpr_read_b32 v12, acc174                     // glvw 13 mb 3 tt1 2 r 0
v_accvgpr_read_b32 v13, acc190                     // glvw 13 mb 3 tt1 2 r 0
v_accvgpr_read_b32 v14, acc143                     // glvw 13 mb 3 tt1 2 r 0
v_accvgpr_read_b32 v15, acc159                     // glvw 13 mb 3 tt1 2 r 0
v_accvgpr_read_b32 v16, acc175                     // glvw 13 mb 3 tt1 2 r 0
v_accvgpr_read_b32 v17, acc191                     // glvw 13 mb 3 tt1 2 r 0
s_nop 1                                            // v_accvgpr read vgpr after write vgpr: 2 wait states
v_accvgpr_write_b32 acc140, v5                     // 
v_accvgpr_write_b32 acc156, v6                     // 
v_accvgpr_write_b32 acc172, v7                     // 
v_accvgpr_write_b32 acc188, v8                     // 
v_accvgpr_write_b32 acc141, v9                     // 
v_accvgpr_write_b32 acc157, v10                    // 
v_accvgpr_write_b32 acc173, v11                    // 
v_accvgpr_write_b32 acc189, v12                    // 
v_accvgpr_write_b32 acc142, v13                    // 
v_accvgpr_write_b32 acc158, v14                    // 
v_accvgpr_write_b32 acc174, v15                    // 
v_accvgpr_write_b32 acc190, v16                    // 
v_accvgpr_write_b32 acc143, v17                    // 
v_accvgpr_read_b32 v5, acc252                      // glvw 13 mb 3 tt1 3 r 0
v_accvgpr_read_b32 v6, acc205                      // glvw 13 mb 3 tt1 3 r 0
v_accvgpr_read_b32 v7, acc221                      // glvw 13 mb 3 tt1 3 r 0
v_accvgpr_read_b32 v8, acc237                      // glvw 13 mb 3 tt1 3 r 0
v_accvgpr_read_b32 v9, acc253                      // glvw 13 mb 3 tt1 3 r 0
v_accvgpr_read_b32 v10, acc206                     // glvw 13 mb 3 tt1 3 r 0
v_accvgpr_read_b32 v11, acc222                     // glvw 13 mb 3 tt1 3 r 0
v_accvgpr_read_b32 v12, acc238                     // glvw 13 mb 3 tt1 3 r 0
v_accvgpr_read_b32 v13, acc254                     // glvw 13 mb 3 tt1 3 r 0
v_accvgpr_read_b32 v14, acc207                     // glvw 13 mb 3 tt1 3 r 0
v_accvgpr_read_b32 v15, acc223                     // glvw 13 mb 3 tt1 3 r 0
v_accvgpr_read_b32 v16, acc239                     // glvw 13 mb 3 tt1 3 r 0
v_accvgpr_read_b32 v17, acc255                     // glvw 13 mb 3 tt1 3 r 0
s_nop 1                                            // v_accvgpr read vgpr after write vgpr: 2 wait states
v_accvgpr_write_b32 acc204, v5                     // 
v_accvgpr_write_b32 acc220, v6                     // 
v_accvgpr_write_b32 acc236, v7                     // 
v_accvgpr_write_b32 acc252, v8                     // 
v_accvgpr_write_b32 acc205, v9                     // 
v_accvgpr_write_b32 acc221, v10                    // 
v_accvgpr_write_b32 acc237, v11                    // 
v_accvgpr_write_b32 acc253, v12                    // 
v_accvgpr_write_b32 acc206, v13                    // 
v_accvgpr_write_b32 acc222, v14                    // 
v_accvgpr_write_b32 acc238, v15                    // 
v_accvgpr_write_b32 acc254, v16                    // 
v_accvgpr_write_b32 acc207, v17                    // 
s_mov_b64 s[42:43], 0xFFFFFFFFFFFFFFFF             // to restore all threads active
s_or_saveexec_b64 vcc, s[42:43]                    // all threads active
s_branch label_0168                                // done shifting


/******************************************/
/* shift d0 r=14 mb=0 vw0                 */
/******************************************/
label_0152: // r14 mb0 vw0 
s_mov_b32 s42, 0                                   // 
_v_cmpx_eq_u32 s[42:43], v4, s42                   // is thread in edge glvw region
v_and_b32 v0, 63, v[vgprSerial]                    // permute register between threads
v_lshlrev_b32 v0, 2, v0                            // permute register between threads
v_accvgpr_read_b32 v5, acc32                       // glvw 14 mb 0 tt1 0 r 0
v_accvgpr_read_b32 v6, acc48                       // glvw 14 mb 0 tt1 0 r 0
v_accvgpr_read_b32 v7, acc1                        // glvw 14 mb 0 tt1 0 r 0
v_accvgpr_read_b32 v8, acc17                       // glvw 14 mb 0 tt1 0 r 0
v_accvgpr_read_b32 v9, acc33                       // glvw 14 mb 0 tt1 0 r 0
v_accvgpr_read_b32 v10, acc49                      // glvw 14 mb 0 tt1 0 r 0
v_accvgpr_read_b32 v11, acc2                       // glvw 14 mb 0 tt1 0 r 0
v_accvgpr_read_b32 v12, acc18                      // glvw 14 mb 0 tt1 0 r 0
v_accvgpr_read_b32 v13, acc34                      // glvw 14 mb 0 tt1 0 r 0
v_accvgpr_read_b32 v14, acc50                      // glvw 14 mb 0 tt1 0 r 0
v_accvgpr_read_b32 v15, acc3                       // glvw 14 mb 0 tt1 0 r 0
v_accvgpr_read_b32 v16, acc19                      // glvw 14 mb 0 tt1 0 r 0
v_accvgpr_read_b32 v17, acc35                      // glvw 14 mb 0 tt1 0 r 0
v_accvgpr_read_b32 v18, acc51                      // glvw 14 mb 0 tt1 0 r 0
s_nop 1                                            // v_accvgpr read vgpr after write vgpr: 2 wait states
v_accvgpr_write_b32 acc0, v5                       // 
v_accvgpr_write_b32 acc16, v6                      // 
v_accvgpr_write_b32 acc32, v7                      // 
v_accvgpr_write_b32 acc48, v8                      // 
v_accvgpr_write_b32 acc1, v9                       // 
v_accvgpr_write_b32 acc17, v10                     // 
v_accvgpr_write_b32 acc33, v11                     // 
v_accvgpr_write_b32 acc49, v12                     // 
v_accvgpr_write_b32 acc2, v13                      // 
v_accvgpr_write_b32 acc18, v14                     // 
v_accvgpr_write_b32 acc34, v15                     // 
v_accvgpr_write_b32 acc50, v16                     // 
v_accvgpr_write_b32 acc3, v17                      // 
v_accvgpr_write_b32 acc19, v18                     // 
v_accvgpr_read_b32 v5, acc96                       // glvw 14 mb 0 tt1 1 r 0
v_accvgpr_read_b32 v6, acc112                      // glvw 14 mb 0 tt1 1 r 0
v_accvgpr_read_b32 v7, acc65                       // glvw 14 mb 0 tt1 1 r 0
v_accvgpr_read_b32 v8, acc81                       // glvw 14 mb 0 tt1 1 r 0
v_accvgpr_read_b32 v9, acc97                       // glvw 14 mb 0 tt1 1 r 0
v_accvgpr_read_b32 v10, acc113                     // glvw 14 mb 0 tt1 1 r 0
v_accvgpr_read_b32 v11, acc66                      // glvw 14 mb 0 tt1 1 r 0
v_accvgpr_read_b32 v12, acc82                      // glvw 14 mb 0 tt1 1 r 0
v_accvgpr_read_b32 v13, acc98                      // glvw 14 mb 0 tt1 1 r 0
v_accvgpr_read_b32 v14, acc114                     // glvw 14 mb 0 tt1 1 r 0
v_accvgpr_read_b32 v15, acc67                      // glvw 14 mb 0 tt1 1 r 0
v_accvgpr_read_b32 v16, acc83                      // glvw 14 mb 0 tt1 1 r 0
v_accvgpr_read_b32 v17, acc99                      // glvw 14 mb 0 tt1 1 r 0
v_accvgpr_read_b32 v18, acc115                     // glvw 14 mb 0 tt1 1 r 0
s_nop 1                                            // v_accvgpr read vgpr after write vgpr: 2 wait states
v_accvgpr_write_b32 acc64, v5                      // 
v_accvgpr_write_b32 acc80, v6                      // 
v_accvgpr_write_b32 acc96, v7                      // 
v_accvgpr_write_b32 acc112, v8                     // 
v_accvgpr_write_b32 acc65, v9                      // 
v_accvgpr_write_b32 acc81, v10                     // 
v_accvgpr_write_b32 acc97, v11                     // 
v_accvgpr_write_b32 acc113, v12                    // 
v_accvgpr_write_b32 acc66, v13                     // 
v_accvgpr_write_b32 acc82, v14                     // 
v_accvgpr_write_b32 acc98, v15                     // 
v_accvgpr_write_b32 acc114, v16                    // 
v_accvgpr_write_b32 acc67, v17                     // 
v_accvgpr_write_b32 acc83, v18                     // 
v_accvgpr_read_b32 v5, acc160                      // glvw 14 mb 0 tt1 2 r 0
v_accvgpr_read_b32 v6, acc176                      // glvw 14 mb 0 tt1 2 r 0
v_accvgpr_read_b32 v7, acc129                      // glvw 14 mb 0 tt1 2 r 0
v_accvgpr_read_b32 v8, acc145                      // glvw 14 mb 0 tt1 2 r 0
v_accvgpr_read_b32 v9, acc161                      // glvw 14 mb 0 tt1 2 r 0
v_accvgpr_read_b32 v10, acc177                     // glvw 14 mb 0 tt1 2 r 0
v_accvgpr_read_b32 v11, acc130                     // glvw 14 mb 0 tt1 2 r 0
v_accvgpr_read_b32 v12, acc146                     // glvw 14 mb 0 tt1 2 r 0
v_accvgpr_read_b32 v13, acc162                     // glvw 14 mb 0 tt1 2 r 0
v_accvgpr_read_b32 v14, acc178                     // glvw 14 mb 0 tt1 2 r 0
v_accvgpr_read_b32 v15, acc131                     // glvw 14 mb 0 tt1 2 r 0
v_accvgpr_read_b32 v16, acc147                     // glvw 14 mb 0 tt1 2 r 0
v_accvgpr_read_b32 v17, acc163                     // glvw 14 mb 0 tt1 2 r 0
v_accvgpr_read_b32 v18, acc179                     // glvw 14 mb 0 tt1 2 r 0
s_nop 1                                            // v_accvgpr read vgpr after write vgpr: 2 wait states
v_accvgpr_write_b32 acc128, v5                     // 
v_accvgpr_write_b32 acc144, v6                     // 
v_accvgpr_write_b32 acc160, v7                     // 
v_accvgpr_write_b32 acc176, v8                     // 
v_accvgpr_write_b32 acc129, v9                     // 
v_accvgpr_write_b32 acc145, v10                    // 
v_accvgpr_write_b32 acc161, v11                    // 
v_accvgpr_write_b32 acc177, v12                    // 
v_accvgpr_write_b32 acc130, v13                    // 
v_accvgpr_write_b32 acc146, v14                    // 
v_accvgpr_write_b32 acc162, v15                    // 
v_accvgpr_write_b32 acc178, v16                    // 
v_accvgpr_write_b32 acc131, v17                    // 
v_accvgpr_write_b32 acc147, v18                    // 
v_accvgpr_read_b32 v5, acc224                      // glvw 14 mb 0 tt1 3 r 0
v_accvgpr_read_b32 v6, acc240                      // glvw 14 mb 0 tt1 3 r 0
v_accvgpr_read_b32 v7, acc193                      // glvw 14 mb 0 tt1 3 r 0
v_accvgpr_read_b32 v8, acc209                      // glvw 14 mb 0 tt1 3 r 0
v_accvgpr_read_b32 v9, acc225                      // glvw 14 mb 0 tt1 3 r 0
v_accvgpr_read_b32 v10, acc241                     // glvw 14 mb 0 tt1 3 r 0
v_accvgpr_read_b32 v11, acc194                     // glvw 14 mb 0 tt1 3 r 0
v_accvgpr_read_b32 v12, acc210                     // glvw 14 mb 0 tt1 3 r 0
v_accvgpr_read_b32 v13, acc226                     // glvw 14 mb 0 tt1 3 r 0
v_accvgpr_read_b32 v14, acc242                     // glvw 14 mb 0 tt1 3 r 0
v_accvgpr_read_b32 v15, acc195                     // glvw 14 mb 0 tt1 3 r 0
v_accvgpr_read_b32 v16, acc211                     // glvw 14 mb 0 tt1 3 r 0
v_accvgpr_read_b32 v17, acc227                     // glvw 14 mb 0 tt1 3 r 0
v_accvgpr_read_b32 v18, acc243                     // glvw 14 mb 0 tt1 3 r 0
s_nop 1                                            // v_accvgpr read vgpr after write vgpr: 2 wait states
v_accvgpr_write_b32 acc192, v5                     // 
v_accvgpr_write_b32 acc208, v6                     // 
v_accvgpr_write_b32 acc224, v7                     // 
v_accvgpr_write_b32 acc240, v8                     // 
v_accvgpr_write_b32 acc193, v9                     // 
v_accvgpr_write_b32 acc209, v10                    // 
v_accvgpr_write_b32 acc225, v11                    // 
v_accvgpr_write_b32 acc241, v12                    // 
v_accvgpr_write_b32 acc194, v13                    // 
v_accvgpr_write_b32 acc210, v14                    // 
v_accvgpr_write_b32 acc226, v15                    // 
v_accvgpr_write_b32 acc242, v16                    // 
v_accvgpr_write_b32 acc195, v17                    // 
v_accvgpr_write_b32 acc211, v18                    // 
s_mov_b64 s[42:43], 0xFFFFFFFFFFFFFFFF             // to restore all threads active
s_or_saveexec_b64 vcc, s[42:43]                    // all threads active
s_branch label_0168                                // done shifting


/******************************************/
/* shift d0 r=14 mb=1 vw0                 */
/******************************************/
label_0154: // r14 mb1 vw0 
s_mov_b32 s42, 2                                   // 
_v_cmpx_eq_u32 s[42:43], v4, s42                   // is thread in edge glvw region
v_and_b32 v0, 63, v[vgprSerial]                    // permute register between threads
v_lshlrev_b32 v0, 2, v0                            // permute register between threads
v_accvgpr_read_b32 v5, acc36                       // glvw 14 mb 1 tt1 0 r 0
v_accvgpr_read_b32 v6, acc52                       // glvw 14 mb 1 tt1 0 r 0
v_accvgpr_read_b32 v7, acc5                        // glvw 14 mb 1 tt1 0 r 0
v_accvgpr_read_b32 v8, acc21                       // glvw 14 mb 1 tt1 0 r 0
v_accvgpr_read_b32 v9, acc37                       // glvw 14 mb 1 tt1 0 r 0
v_accvgpr_read_b32 v10, acc53                      // glvw 14 mb 1 tt1 0 r 0
v_accvgpr_read_b32 v11, acc6                       // glvw 14 mb 1 tt1 0 r 0
v_accvgpr_read_b32 v12, acc22                      // glvw 14 mb 1 tt1 0 r 0
v_accvgpr_read_b32 v13, acc38                      // glvw 14 mb 1 tt1 0 r 0
v_accvgpr_read_b32 v14, acc54                      // glvw 14 mb 1 tt1 0 r 0
v_accvgpr_read_b32 v15, acc7                       // glvw 14 mb 1 tt1 0 r 0
v_accvgpr_read_b32 v16, acc23                      // glvw 14 mb 1 tt1 0 r 0
v_accvgpr_read_b32 v17, acc39                      // glvw 14 mb 1 tt1 0 r 0
v_accvgpr_read_b32 v18, acc55                      // glvw 14 mb 1 tt1 0 r 0
s_nop 1                                            // v_accvgpr read vgpr after write vgpr: 2 wait states
v_accvgpr_write_b32 acc4, v5                       // 
v_accvgpr_write_b32 acc20, v6                      // 
v_accvgpr_write_b32 acc36, v7                      // 
v_accvgpr_write_b32 acc52, v8                      // 
v_accvgpr_write_b32 acc5, v9                       // 
v_accvgpr_write_b32 acc21, v10                     // 
v_accvgpr_write_b32 acc37, v11                     // 
v_accvgpr_write_b32 acc53, v12                     // 
v_accvgpr_write_b32 acc6, v13                      // 
v_accvgpr_write_b32 acc22, v14                     // 
v_accvgpr_write_b32 acc38, v15                     // 
v_accvgpr_write_b32 acc54, v16                     // 
v_accvgpr_write_b32 acc7, v17                      // 
v_accvgpr_write_b32 acc23, v18                     // 
v_accvgpr_read_b32 v5, acc100                      // glvw 14 mb 1 tt1 1 r 0
v_accvgpr_read_b32 v6, acc116                      // glvw 14 mb 1 tt1 1 r 0
v_accvgpr_read_b32 v7, acc69                       // glvw 14 mb 1 tt1 1 r 0
v_accvgpr_read_b32 v8, acc85                       // glvw 14 mb 1 tt1 1 r 0
v_accvgpr_read_b32 v9, acc101                      // glvw 14 mb 1 tt1 1 r 0
v_accvgpr_read_b32 v10, acc117                     // glvw 14 mb 1 tt1 1 r 0
v_accvgpr_read_b32 v11, acc70                      // glvw 14 mb 1 tt1 1 r 0
v_accvgpr_read_b32 v12, acc86                      // glvw 14 mb 1 tt1 1 r 0
v_accvgpr_read_b32 v13, acc102                     // glvw 14 mb 1 tt1 1 r 0
v_accvgpr_read_b32 v14, acc118                     // glvw 14 mb 1 tt1 1 r 0
v_accvgpr_read_b32 v15, acc71                      // glvw 14 mb 1 tt1 1 r 0
v_accvgpr_read_b32 v16, acc87                      // glvw 14 mb 1 tt1 1 r 0
v_accvgpr_read_b32 v17, acc103                     // glvw 14 mb 1 tt1 1 r 0
v_accvgpr_read_b32 v18, acc119                     // glvw 14 mb 1 tt1 1 r 0
s_nop 1                                            // v_accvgpr read vgpr after write vgpr: 2 wait states
v_accvgpr_write_b32 acc68, v5                      // 
v_accvgpr_write_b32 acc84, v6                      // 
v_accvgpr_write_b32 acc100, v7                     // 
v_accvgpr_write_b32 acc116, v8                     // 
v_accvgpr_write_b32 acc69, v9                      // 
v_accvgpr_write_b32 acc85, v10                     // 
v_accvgpr_write_b32 acc101, v11                    // 
v_accvgpr_write_b32 acc117, v12                    // 
v_accvgpr_write_b32 acc70, v13                     // 
v_accvgpr_write_b32 acc86, v14                     // 
v_accvgpr_write_b32 acc102, v15                    // 
v_accvgpr_write_b32 acc118, v16                    // 
v_accvgpr_write_b32 acc71, v17                     // 
v_accvgpr_write_b32 acc87, v18                     // 
v_accvgpr_read_b32 v5, acc164                      // glvw 14 mb 1 tt1 2 r 0
v_accvgpr_read_b32 v6, acc180                      // glvw 14 mb 1 tt1 2 r 0
v_accvgpr_read_b32 v7, acc133                      // glvw 14 mb 1 tt1 2 r 0
v_accvgpr_read_b32 v8, acc149                      // glvw 14 mb 1 tt1 2 r 0
v_accvgpr_read_b32 v9, acc165                      // glvw 14 mb 1 tt1 2 r 0
v_accvgpr_read_b32 v10, acc181                     // glvw 14 mb 1 tt1 2 r 0
v_accvgpr_read_b32 v11, acc134                     // glvw 14 mb 1 tt1 2 r 0
v_accvgpr_read_b32 v12, acc150                     // glvw 14 mb 1 tt1 2 r 0
v_accvgpr_read_b32 v13, acc166                     // glvw 14 mb 1 tt1 2 r 0
v_accvgpr_read_b32 v14, acc182                     // glvw 14 mb 1 tt1 2 r 0
v_accvgpr_read_b32 v15, acc135                     // glvw 14 mb 1 tt1 2 r 0
v_accvgpr_read_b32 v16, acc151                     // glvw 14 mb 1 tt1 2 r 0
v_accvgpr_read_b32 v17, acc167                     // glvw 14 mb 1 tt1 2 r 0
v_accvgpr_read_b32 v18, acc183                     // glvw 14 mb 1 tt1 2 r 0
s_nop 1                                            // v_accvgpr read vgpr after write vgpr: 2 wait states
v_accvgpr_write_b32 acc132, v5                     // 
v_accvgpr_write_b32 acc148, v6                     // 
v_accvgpr_write_b32 acc164, v7                     // 
v_accvgpr_write_b32 acc180, v8                     // 
v_accvgpr_write_b32 acc133, v9                     // 
v_accvgpr_write_b32 acc149, v10                    // 
v_accvgpr_write_b32 acc165, v11                    // 
v_accvgpr_write_b32 acc181, v12                    // 
v_accvgpr_write_b32 acc134, v13                    // 
v_accvgpr_write_b32 acc150, v14                    // 
v_accvgpr_write_b32 acc166, v15                    // 
v_accvgpr_write_b32 acc182, v16                    // 
v_accvgpr_write_b32 acc135, v17                    // 
v_accvgpr_write_b32 acc151, v18                    // 
v_accvgpr_read_b32 v5, acc228                      // glvw 14 mb 1 tt1 3 r 0
v_accvgpr_read_b32 v6, acc244                      // glvw 14 mb 1 tt1 3 r 0
v_accvgpr_read_b32 v7, acc197                      // glvw 14 mb 1 tt1 3 r 0
v_accvgpr_read_b32 v8, acc213                      // glvw 14 mb 1 tt1 3 r 0
v_accvgpr_read_b32 v9, acc229                      // glvw 14 mb 1 tt1 3 r 0
v_accvgpr_read_b32 v10, acc245                     // glvw 14 mb 1 tt1 3 r 0
v_accvgpr_read_b32 v11, acc198                     // glvw 14 mb 1 tt1 3 r 0
v_accvgpr_read_b32 v12, acc214                     // glvw 14 mb 1 tt1 3 r 0
v_accvgpr_read_b32 v13, acc230                     // glvw 14 mb 1 tt1 3 r 0
v_accvgpr_read_b32 v14, acc246                     // glvw 14 mb 1 tt1 3 r 0
v_accvgpr_read_b32 v15, acc199                     // glvw 14 mb 1 tt1 3 r 0
v_accvgpr_read_b32 v16, acc215                     // glvw 14 mb 1 tt1 3 r 0
v_accvgpr_read_b32 v17, acc231                     // glvw 14 mb 1 tt1 3 r 0
v_accvgpr_read_b32 v18, acc247                     // glvw 14 mb 1 tt1 3 r 0
s_nop 1                                            // v_accvgpr read vgpr after write vgpr: 2 wait states
v_accvgpr_write_b32 acc196, v5                     // 
v_accvgpr_write_b32 acc212, v6                     // 
v_accvgpr_write_b32 acc228, v7                     // 
v_accvgpr_write_b32 acc244, v8                     // 
v_accvgpr_write_b32 acc197, v9                     // 
v_accvgpr_write_b32 acc213, v10                    // 
v_accvgpr_write_b32 acc229, v11                    // 
v_accvgpr_write_b32 acc245, v12                    // 
v_accvgpr_write_b32 acc198, v13                    // 
v_accvgpr_write_b32 acc214, v14                    // 
v_accvgpr_write_b32 acc230, v15                    // 
v_accvgpr_write_b32 acc246, v16                    // 
v_accvgpr_write_b32 acc199, v17                    // 
v_accvgpr_write_b32 acc215, v18                    // 
s_mov_b64 s[42:43], 0xFFFFFFFFFFFFFFFF             // to restore all threads active
s_or_saveexec_b64 vcc, s[42:43]                    // all threads active
s_branch label_0168                                // done shifting


/******************************************/
/* shift d0 r=14 mb=2 vw0                 */
/******************************************/
label_0156: // r14 mb2 vw0 
s_mov_b32 s42, 4                                   // 
_v_cmpx_eq_u32 s[42:43], v4, s42                   // is thread in edge glvw region
v_and_b32 v0, 63, v[vgprSerial]                    // permute register between threads
v_lshlrev_b32 v0, 2, v0                            // permute register between threads
v_accvgpr_read_b32 v5, acc40                       // glvw 14 mb 2 tt1 0 r 0
v_accvgpr_read_b32 v6, acc56                       // glvw 14 mb 2 tt1 0 r 0
v_accvgpr_read_b32 v7, acc9                        // glvw 14 mb 2 tt1 0 r 0
v_accvgpr_read_b32 v8, acc25                       // glvw 14 mb 2 tt1 0 r 0
v_accvgpr_read_b32 v9, acc41                       // glvw 14 mb 2 tt1 0 r 0
v_accvgpr_read_b32 v10, acc57                      // glvw 14 mb 2 tt1 0 r 0
v_accvgpr_read_b32 v11, acc10                      // glvw 14 mb 2 tt1 0 r 0
v_accvgpr_read_b32 v12, acc26                      // glvw 14 mb 2 tt1 0 r 0
v_accvgpr_read_b32 v13, acc42                      // glvw 14 mb 2 tt1 0 r 0
v_accvgpr_read_b32 v14, acc58                      // glvw 14 mb 2 tt1 0 r 0
v_accvgpr_read_b32 v15, acc11                      // glvw 14 mb 2 tt1 0 r 0
v_accvgpr_read_b32 v16, acc27                      // glvw 14 mb 2 tt1 0 r 0
v_accvgpr_read_b32 v17, acc43                      // glvw 14 mb 2 tt1 0 r 0
v_accvgpr_read_b32 v18, acc59                      // glvw 14 mb 2 tt1 0 r 0
s_nop 1                                            // v_accvgpr read vgpr after write vgpr: 2 wait states
v_accvgpr_write_b32 acc8, v5                       // 
v_accvgpr_write_b32 acc24, v6                      // 
v_accvgpr_write_b32 acc40, v7                      // 
v_accvgpr_write_b32 acc56, v8                      // 
v_accvgpr_write_b32 acc9, v9                       // 
v_accvgpr_write_b32 acc25, v10                     // 
v_accvgpr_write_b32 acc41, v11                     // 
v_accvgpr_write_b32 acc57, v12                     // 
v_accvgpr_write_b32 acc10, v13                     // 
v_accvgpr_write_b32 acc26, v14                     // 
v_accvgpr_write_b32 acc42, v15                     // 
v_accvgpr_write_b32 acc58, v16                     // 
v_accvgpr_write_b32 acc11, v17                     // 
v_accvgpr_write_b32 acc27, v18                     // 
v_accvgpr_read_b32 v5, acc104                      // glvw 14 mb 2 tt1 1 r 0
v_accvgpr_read_b32 v6, acc120                      // glvw 14 mb 2 tt1 1 r 0
v_accvgpr_read_b32 v7, acc73                       // glvw 14 mb 2 tt1 1 r 0
v_accvgpr_read_b32 v8, acc89                       // glvw 14 mb 2 tt1 1 r 0
v_accvgpr_read_b32 v9, acc105                      // glvw 14 mb 2 tt1 1 r 0
v_accvgpr_read_b32 v10, acc121                     // glvw 14 mb 2 tt1 1 r 0
v_accvgpr_read_b32 v11, acc74                      // glvw 14 mb 2 tt1 1 r 0
v_accvgpr_read_b32 v12, acc90                      // glvw 14 mb 2 tt1 1 r 0
v_accvgpr_read_b32 v13, acc106                     // glvw 14 mb 2 tt1 1 r 0
v_accvgpr_read_b32 v14, acc122                     // glvw 14 mb 2 tt1 1 r 0
v_accvgpr_read_b32 v15, acc75                      // glvw 14 mb 2 tt1 1 r 0
v_accvgpr_read_b32 v16, acc91                      // glvw 14 mb 2 tt1 1 r 0
v_accvgpr_read_b32 v17, acc107                     // glvw 14 mb 2 tt1 1 r 0
v_accvgpr_read_b32 v18, acc123                     // glvw 14 mb 2 tt1 1 r 0
s_nop 1                                            // v_accvgpr read vgpr after write vgpr: 2 wait states
v_accvgpr_write_b32 acc72, v5                      // 
v_accvgpr_write_b32 acc88, v6                      // 
v_accvgpr_write_b32 acc104, v7                     // 
v_accvgpr_write_b32 acc120, v8                     // 
v_accvgpr_write_b32 acc73, v9                      // 
v_accvgpr_write_b32 acc89, v10                     // 
v_accvgpr_write_b32 acc105, v11                    // 
v_accvgpr_write_b32 acc121, v12                    // 
v_accvgpr_write_b32 acc74, v13                     // 
v_accvgpr_write_b32 acc90, v14                     // 
v_accvgpr_write_b32 acc106, v15                    // 
v_accvgpr_write_b32 acc122, v16                    // 
v_accvgpr_write_b32 acc75, v17                     // 
v_accvgpr_write_b32 acc91, v18                     // 
v_accvgpr_read_b32 v5, acc168                      // glvw 14 mb 2 tt1 2 r 0
v_accvgpr_read_b32 v6, acc184                      // glvw 14 mb 2 tt1 2 r 0
v_accvgpr_read_b32 v7, acc137                      // glvw 14 mb 2 tt1 2 r 0
v_accvgpr_read_b32 v8, acc153                      // glvw 14 mb 2 tt1 2 r 0
v_accvgpr_read_b32 v9, acc169                      // glvw 14 mb 2 tt1 2 r 0
v_accvgpr_read_b32 v10, acc185                     // glvw 14 mb 2 tt1 2 r 0
v_accvgpr_read_b32 v11, acc138                     // glvw 14 mb 2 tt1 2 r 0
v_accvgpr_read_b32 v12, acc154                     // glvw 14 mb 2 tt1 2 r 0
v_accvgpr_read_b32 v13, acc170                     // glvw 14 mb 2 tt1 2 r 0
v_accvgpr_read_b32 v14, acc186                     // glvw 14 mb 2 tt1 2 r 0
v_accvgpr_read_b32 v15, acc139                     // glvw 14 mb 2 tt1 2 r 0
v_accvgpr_read_b32 v16, acc155                     // glvw 14 mb 2 tt1 2 r 0
v_accvgpr_read_b32 v17, acc171                     // glvw 14 mb 2 tt1 2 r 0
v_accvgpr_read_b32 v18, acc187                     // glvw 14 mb 2 tt1 2 r 0
s_nop 1                                            // v_accvgpr read vgpr after write vgpr: 2 wait states
v_accvgpr_write_b32 acc136, v5                     // 
v_accvgpr_write_b32 acc152, v6                     // 
v_accvgpr_write_b32 acc168, v7                     // 
v_accvgpr_write_b32 acc184, v8                     // 
v_accvgpr_write_b32 acc137, v9                     // 
v_accvgpr_write_b32 acc153, v10                    // 
v_accvgpr_write_b32 acc169, v11                    // 
v_accvgpr_write_b32 acc185, v12                    // 
v_accvgpr_write_b32 acc138, v13                    // 
v_accvgpr_write_b32 acc154, v14                    // 
v_accvgpr_write_b32 acc170, v15                    // 
v_accvgpr_write_b32 acc186, v16                    // 
v_accvgpr_write_b32 acc139, v17                    // 
v_accvgpr_write_b32 acc155, v18                    // 
v_accvgpr_read_b32 v5, acc232                      // glvw 14 mb 2 tt1 3 r 0
v_accvgpr_read_b32 v6, acc248                      // glvw 14 mb 2 tt1 3 r 0
v_accvgpr_read_b32 v7, acc201                      // glvw 14 mb 2 tt1 3 r 0
v_accvgpr_read_b32 v8, acc217                      // glvw 14 mb 2 tt1 3 r 0
v_accvgpr_read_b32 v9, acc233                      // glvw 14 mb 2 tt1 3 r 0
v_accvgpr_read_b32 v10, acc249                     // glvw 14 mb 2 tt1 3 r 0
v_accvgpr_read_b32 v11, acc202                     // glvw 14 mb 2 tt1 3 r 0
v_accvgpr_read_b32 v12, acc218                     // glvw 14 mb 2 tt1 3 r 0
v_accvgpr_read_b32 v13, acc234                     // glvw 14 mb 2 tt1 3 r 0
v_accvgpr_read_b32 v14, acc250                     // glvw 14 mb 2 tt1 3 r 0
v_accvgpr_read_b32 v15, acc203                     // glvw 14 mb 2 tt1 3 r 0
v_accvgpr_read_b32 v16, acc219                     // glvw 14 mb 2 tt1 3 r 0
v_accvgpr_read_b32 v17, acc235                     // glvw 14 mb 2 tt1 3 r 0
v_accvgpr_read_b32 v18, acc251                     // glvw 14 mb 2 tt1 3 r 0
s_nop 1                                            // v_accvgpr read vgpr after write vgpr: 2 wait states
v_accvgpr_write_b32 acc200, v5                     // 
v_accvgpr_write_b32 acc216, v6                     // 
v_accvgpr_write_b32 acc232, v7                     // 
v_accvgpr_write_b32 acc248, v8                     // 
v_accvgpr_write_b32 acc201, v9                     // 
v_accvgpr_write_b32 acc217, v10                    // 
v_accvgpr_write_b32 acc233, v11                    // 
v_accvgpr_write_b32 acc249, v12                    // 
v_accvgpr_write_b32 acc202, v13                    // 
v_accvgpr_write_b32 acc218, v14                    // 
v_accvgpr_write_b32 acc234, v15                    // 
v_accvgpr_write_b32 acc250, v16                    // 
v_accvgpr_write_b32 acc203, v17                    // 
v_accvgpr_write_b32 acc219, v18                    // 
s_mov_b64 s[42:43], 0xFFFFFFFFFFFFFFFF             // to restore all threads active
s_or_saveexec_b64 vcc, s[42:43]                    // all threads active
s_branch label_0168                                // done shifting


/******************************************/
/* shift d0 r=14 mb=3 vw0                 */
/******************************************/
label_0158: // r14 mb3 vw0 
s_mov_b32 s42, 6                                   // 
_v_cmpx_eq_u32 s[42:43], v4, s42                   // is thread in edge glvw region
v_and_b32 v0, 63, v[vgprSerial]                    // permute register between threads
v_lshlrev_b32 v0, 2, v0                            // permute register between threads
v_accvgpr_read_b32 v5, acc44                       // glvw 14 mb 3 tt1 0 r 0
v_accvgpr_read_b32 v6, acc60                       // glvw 14 mb 3 tt1 0 r 0
v_accvgpr_read_b32 v7, acc13                       // glvw 14 mb 3 tt1 0 r 0
v_accvgpr_read_b32 v8, acc29                       // glvw 14 mb 3 tt1 0 r 0
v_accvgpr_read_b32 v9, acc45                       // glvw 14 mb 3 tt1 0 r 0
v_accvgpr_read_b32 v10, acc61                      // glvw 14 mb 3 tt1 0 r 0
v_accvgpr_read_b32 v11, acc14                      // glvw 14 mb 3 tt1 0 r 0
v_accvgpr_read_b32 v12, acc30                      // glvw 14 mb 3 tt1 0 r 0
v_accvgpr_read_b32 v13, acc46                      // glvw 14 mb 3 tt1 0 r 0
v_accvgpr_read_b32 v14, acc62                      // glvw 14 mb 3 tt1 0 r 0
v_accvgpr_read_b32 v15, acc15                      // glvw 14 mb 3 tt1 0 r 0
v_accvgpr_read_b32 v16, acc31                      // glvw 14 mb 3 tt1 0 r 0
v_accvgpr_read_b32 v17, acc47                      // glvw 14 mb 3 tt1 0 r 0
v_accvgpr_read_b32 v18, acc63                      // glvw 14 mb 3 tt1 0 r 0
s_nop 1                                            // v_accvgpr read vgpr after write vgpr: 2 wait states
v_accvgpr_write_b32 acc12, v5                      // 
v_accvgpr_write_b32 acc28, v6                      // 
v_accvgpr_write_b32 acc44, v7                      // 
v_accvgpr_write_b32 acc60, v8                      // 
v_accvgpr_write_b32 acc13, v9                      // 
v_accvgpr_write_b32 acc29, v10                     // 
v_accvgpr_write_b32 acc45, v11                     // 
v_accvgpr_write_b32 acc61, v12                     // 
v_accvgpr_write_b32 acc14, v13                     // 
v_accvgpr_write_b32 acc30, v14                     // 
v_accvgpr_write_b32 acc46, v15                     // 
v_accvgpr_write_b32 acc62, v16                     // 
v_accvgpr_write_b32 acc15, v17                     // 
v_accvgpr_write_b32 acc31, v18                     // 
v_accvgpr_read_b32 v5, acc108                      // glvw 14 mb 3 tt1 1 r 0
v_accvgpr_read_b32 v6, acc124                      // glvw 14 mb 3 tt1 1 r 0
v_accvgpr_read_b32 v7, acc77                       // glvw 14 mb 3 tt1 1 r 0
v_accvgpr_read_b32 v8, acc93                       // glvw 14 mb 3 tt1 1 r 0
v_accvgpr_read_b32 v9, acc109                      // glvw 14 mb 3 tt1 1 r 0
v_accvgpr_read_b32 v10, acc125                     // glvw 14 mb 3 tt1 1 r 0
v_accvgpr_read_b32 v11, acc78                      // glvw 14 mb 3 tt1 1 r 0
v_accvgpr_read_b32 v12, acc94                      // glvw 14 mb 3 tt1 1 r 0
v_accvgpr_read_b32 v13, acc110                     // glvw 14 mb 3 tt1 1 r 0
v_accvgpr_read_b32 v14, acc126                     // glvw 14 mb 3 tt1 1 r 0
v_accvgpr_read_b32 v15, acc79                      // glvw 14 mb 3 tt1 1 r 0
v_accvgpr_read_b32 v16, acc95                      // glvw 14 mb 3 tt1 1 r 0
v_accvgpr_read_b32 v17, acc111                     // glvw 14 mb 3 tt1 1 r 0
v_accvgpr_read_b32 v18, acc127                     // glvw 14 mb 3 tt1 1 r 0
s_nop 1                                            // v_accvgpr read vgpr after write vgpr: 2 wait states
v_accvgpr_write_b32 acc76, v5                      // 
v_accvgpr_write_b32 acc92, v6                      // 
v_accvgpr_write_b32 acc108, v7                     // 
v_accvgpr_write_b32 acc124, v8                     // 
v_accvgpr_write_b32 acc77, v9                      // 
v_accvgpr_write_b32 acc93, v10                     // 
v_accvgpr_write_b32 acc109, v11                    // 
v_accvgpr_write_b32 acc125, v12                    // 
v_accvgpr_write_b32 acc78, v13                     // 
v_accvgpr_write_b32 acc94, v14                     // 
v_accvgpr_write_b32 acc110, v15                    // 
v_accvgpr_write_b32 acc126, v16                    // 
v_accvgpr_write_b32 acc79, v17                     // 
v_accvgpr_write_b32 acc95, v18                     // 
v_accvgpr_read_b32 v5, acc172                      // glvw 14 mb 3 tt1 2 r 0
v_accvgpr_read_b32 v6, acc188                      // glvw 14 mb 3 tt1 2 r 0
v_accvgpr_read_b32 v7, acc141                      // glvw 14 mb 3 tt1 2 r 0
v_accvgpr_read_b32 v8, acc157                      // glvw 14 mb 3 tt1 2 r 0
v_accvgpr_read_b32 v9, acc173                      // glvw 14 mb 3 tt1 2 r 0
v_accvgpr_read_b32 v10, acc189                     // glvw 14 mb 3 tt1 2 r 0
v_accvgpr_read_b32 v11, acc142                     // glvw 14 mb 3 tt1 2 r 0
v_accvgpr_read_b32 v12, acc158                     // glvw 14 mb 3 tt1 2 r 0
v_accvgpr_read_b32 v13, acc174                     // glvw 14 mb 3 tt1 2 r 0
v_accvgpr_read_b32 v14, acc190                     // glvw 14 mb 3 tt1 2 r 0
v_accvgpr_read_b32 v15, acc143                     // glvw 14 mb 3 tt1 2 r 0
v_accvgpr_read_b32 v16, acc159                     // glvw 14 mb 3 tt1 2 r 0
v_accvgpr_read_b32 v17, acc175                     // glvw 14 mb 3 tt1 2 r 0
v_accvgpr_read_b32 v18, acc191                     // glvw 14 mb 3 tt1 2 r 0
s_nop 1                                            // v_accvgpr read vgpr after write vgpr: 2 wait states
v_accvgpr_write_b32 acc140, v5                     // 
v_accvgpr_write_b32 acc156, v6                     // 
v_accvgpr_write_b32 acc172, v7                     // 
v_accvgpr_write_b32 acc188, v8                     // 
v_accvgpr_write_b32 acc141, v9                     // 
v_accvgpr_write_b32 acc157, v10                    // 
v_accvgpr_write_b32 acc173, v11                    // 
v_accvgpr_write_b32 acc189, v12                    // 
v_accvgpr_write_b32 acc142, v13                    // 
v_accvgpr_write_b32 acc158, v14                    // 
v_accvgpr_write_b32 acc174, v15                    // 
v_accvgpr_write_b32 acc190, v16                    // 
v_accvgpr_write_b32 acc143, v17                    // 
v_accvgpr_write_b32 acc159, v18                    // 
v_accvgpr_read_b32 v5, acc236                      // glvw 14 mb 3 tt1 3 r 0
v_accvgpr_read_b32 v6, acc252                      // glvw 14 mb 3 tt1 3 r 0
v_accvgpr_read_b32 v7, acc205                      // glvw 14 mb 3 tt1 3 r 0
v_accvgpr_read_b32 v8, acc221                      // glvw 14 mb 3 tt1 3 r 0
v_accvgpr_read_b32 v9, acc237                      // glvw 14 mb 3 tt1 3 r 0
v_accvgpr_read_b32 v10, acc253                     // glvw 14 mb 3 tt1 3 r 0
v_accvgpr_read_b32 v11, acc206                     // glvw 14 mb 3 tt1 3 r 0
v_accvgpr_read_b32 v12, acc222                     // glvw 14 mb 3 tt1 3 r 0
v_accvgpr_read_b32 v13, acc238                     // glvw 14 mb 3 tt1 3 r 0
v_accvgpr_read_b32 v14, acc254                     // glvw 14 mb 3 tt1 3 r 0
v_accvgpr_read_b32 v15, acc207                     // glvw 14 mb 3 tt1 3 r 0
v_accvgpr_read_b32 v16, acc223                     // glvw 14 mb 3 tt1 3 r 0
v_accvgpr_read_b32 v17, acc239                     // glvw 14 mb 3 tt1 3 r 0
v_accvgpr_read_b32 v18, acc255                     // glvw 14 mb 3 tt1 3 r 0
s_nop 1                                            // v_accvgpr read vgpr after write vgpr: 2 wait states
v_accvgpr_write_b32 acc204, v5                     // 
v_accvgpr_write_b32 acc220, v6                     // 
v_accvgpr_write_b32 acc236, v7                     // 
v_accvgpr_write_b32 acc252, v8                     // 
v_accvgpr_write_b32 acc205, v9                     // 
v_accvgpr_write_b32 acc221, v10                    // 
v_accvgpr_write_b32 acc237, v11                    // 
v_accvgpr_write_b32 acc253, v12                    // 
v_accvgpr_write_b32 acc206, v13                    // 
v_accvgpr_write_b32 acc222, v14                    // 
v_accvgpr_write_b32 acc238, v15                    // 
v_accvgpr_write_b32 acc254, v16                    // 
v_accvgpr_write_b32 acc207, v17                    // 
v_accvgpr_write_b32 acc223, v18                    // 
s_mov_b64 s[42:43], 0xFFFFFFFFFFFFFFFF             // to restore all threads active
s_or_saveexec_b64 vcc, s[42:43]                    // all threads active
s_branch label_0168                                // done shifting


/******************************************/
/* shift d0 r=15 mb=0 vw0                 */
/******************************************/
label_0161: // r15 mb0 vw0 
s_mov_b32 s42, 0                                   // 
_v_cmpx_eq_u32 s[42:43], v4, s42                   // is thread in edge glvw region
v_and_b32 v0, 63, v[vgprSerial]                    // permute register between threads
v_lshlrev_b32 v0, 2, v0                            // permute register between threads
v_accvgpr_read_b32 v5, acc16                       // glvw 15 mb 0 tt1 0 r 0
v_accvgpr_read_b32 v6, acc32                       // glvw 15 mb 0 tt1 0 r 0
v_accvgpr_read_b32 v7, acc48                       // glvw 15 mb 0 tt1 0 r 0
v_accvgpr_read_b32 v8, acc1                        // glvw 15 mb 0 tt1 0 r 0
v_accvgpr_read_b32 v9, acc17                       // glvw 15 mb 0 tt1 0 r 0
v_accvgpr_read_b32 v10, acc33                      // glvw 15 mb 0 tt1 0 r 0
v_accvgpr_read_b32 v11, acc49                      // glvw 15 mb 0 tt1 0 r 0
v_accvgpr_read_b32 v12, acc2                       // glvw 15 mb 0 tt1 0 r 0
v_accvgpr_read_b32 v13, acc18                      // glvw 15 mb 0 tt1 0 r 0
v_accvgpr_read_b32 v14, acc34                      // glvw 15 mb 0 tt1 0 r 0
v_accvgpr_read_b32 v15, acc50                      // glvw 15 mb 0 tt1 0 r 0
v_accvgpr_read_b32 v16, acc3                       // glvw 15 mb 0 tt1 0 r 0
v_accvgpr_read_b32 v17, acc19                      // glvw 15 mb 0 tt1 0 r 0
v_accvgpr_read_b32 v18, acc35                      // glvw 15 mb 0 tt1 0 r 0
v_accvgpr_read_b32 v19, acc51                      // glvw 15 mb 0 tt1 0 r 0
s_nop 1                                            // v_accvgpr read vgpr after write vgpr: 2 wait states
v_accvgpr_write_b32 acc0, v5                       // 
v_accvgpr_write_b32 acc16, v6                      // 
v_accvgpr_write_b32 acc32, v7                      // 
v_accvgpr_write_b32 acc48, v8                      // 
v_accvgpr_write_b32 acc1, v9                       // 
v_accvgpr_write_b32 acc17, v10                     // 
v_accvgpr_write_b32 acc33, v11                     // 
v_accvgpr_write_b32 acc49, v12                     // 
v_accvgpr_write_b32 acc2, v13                      // 
v_accvgpr_write_b32 acc18, v14                     // 
v_accvgpr_write_b32 acc34, v15                     // 
v_accvgpr_write_b32 acc50, v16                     // 
v_accvgpr_write_b32 acc3, v17                      // 
v_accvgpr_write_b32 acc19, v18                     // 
v_accvgpr_write_b32 acc35, v19                     // 
v_accvgpr_read_b32 v5, acc80                       // glvw 15 mb 0 tt1 1 r 0
v_accvgpr_read_b32 v6, acc96                       // glvw 15 mb 0 tt1 1 r 0
v_accvgpr_read_b32 v7, acc112                      // glvw 15 mb 0 tt1 1 r 0
v_accvgpr_read_b32 v8, acc65                       // glvw 15 mb 0 tt1 1 r 0
v_accvgpr_read_b32 v9, acc81                       // glvw 15 mb 0 tt1 1 r 0
v_accvgpr_read_b32 v10, acc97                      // glvw 15 mb 0 tt1 1 r 0
v_accvgpr_read_b32 v11, acc113                     // glvw 15 mb 0 tt1 1 r 0
v_accvgpr_read_b32 v12, acc66                      // glvw 15 mb 0 tt1 1 r 0
v_accvgpr_read_b32 v13, acc82                      // glvw 15 mb 0 tt1 1 r 0
v_accvgpr_read_b32 v14, acc98                      // glvw 15 mb 0 tt1 1 r 0
v_accvgpr_read_b32 v15, acc114                     // glvw 15 mb 0 tt1 1 r 0
v_accvgpr_read_b32 v16, acc67                      // glvw 15 mb 0 tt1 1 r 0
v_accvgpr_read_b32 v17, acc83                      // glvw 15 mb 0 tt1 1 r 0
v_accvgpr_read_b32 v18, acc99                      // glvw 15 mb 0 tt1 1 r 0
v_accvgpr_read_b32 v19, acc115                     // glvw 15 mb 0 tt1 1 r 0
s_nop 1                                            // v_accvgpr read vgpr after write vgpr: 2 wait states
v_accvgpr_write_b32 acc64, v5                      // 
v_accvgpr_write_b32 acc80, v6                      // 
v_accvgpr_write_b32 acc96, v7                      // 
v_accvgpr_write_b32 acc112, v8                     // 
v_accvgpr_write_b32 acc65, v9                      // 
v_accvgpr_write_b32 acc81, v10                     // 
v_accvgpr_write_b32 acc97, v11                     // 
v_accvgpr_write_b32 acc113, v12                    // 
v_accvgpr_write_b32 acc66, v13                     // 
v_accvgpr_write_b32 acc82, v14                     // 
v_accvgpr_write_b32 acc98, v15                     // 
v_accvgpr_write_b32 acc114, v16                    // 
v_accvgpr_write_b32 acc67, v17                     // 
v_accvgpr_write_b32 acc83, v18                     // 
v_accvgpr_write_b32 acc99, v19                     // 
v_accvgpr_read_b32 v5, acc144                      // glvw 15 mb 0 tt1 2 r 0
v_accvgpr_read_b32 v6, acc160                      // glvw 15 mb 0 tt1 2 r 0
v_accvgpr_read_b32 v7, acc176                      // glvw 15 mb 0 tt1 2 r 0
v_accvgpr_read_b32 v8, acc129                      // glvw 15 mb 0 tt1 2 r 0
v_accvgpr_read_b32 v9, acc145                      // glvw 15 mb 0 tt1 2 r 0
v_accvgpr_read_b32 v10, acc161                     // glvw 15 mb 0 tt1 2 r 0
v_accvgpr_read_b32 v11, acc177                     // glvw 15 mb 0 tt1 2 r 0
v_accvgpr_read_b32 v12, acc130                     // glvw 15 mb 0 tt1 2 r 0
v_accvgpr_read_b32 v13, acc146                     // glvw 15 mb 0 tt1 2 r 0
v_accvgpr_read_b32 v14, acc162                     // glvw 15 mb 0 tt1 2 r 0
v_accvgpr_read_b32 v15, acc178                     // glvw 15 mb 0 tt1 2 r 0
v_accvgpr_read_b32 v16, acc131                     // glvw 15 mb 0 tt1 2 r 0
v_accvgpr_read_b32 v17, acc147                     // glvw 15 mb 0 tt1 2 r 0
v_accvgpr_read_b32 v18, acc163                     // glvw 15 mb 0 tt1 2 r 0
v_accvgpr_read_b32 v19, acc179                     // glvw 15 mb 0 tt1 2 r 0
s_nop 1                                            // v_accvgpr read vgpr after write vgpr: 2 wait states
v_accvgpr_write_b32 acc128, v5                     // 
v_accvgpr_write_b32 acc144, v6                     // 
v_accvgpr_write_b32 acc160, v7                     // 
v_accvgpr_write_b32 acc176, v8                     // 
v_accvgpr_write_b32 acc129, v9                     // 
v_accvgpr_write_b32 acc145, v10                    // 
v_accvgpr_write_b32 acc161, v11                    // 
v_accvgpr_write_b32 acc177, v12                    // 
v_accvgpr_write_b32 acc130, v13                    // 
v_accvgpr_write_b32 acc146, v14                    // 
v_accvgpr_write_b32 acc162, v15                    // 
v_accvgpr_write_b32 acc178, v16                    // 
v_accvgpr_write_b32 acc131, v17                    // 
v_accvgpr_write_b32 acc147, v18                    // 
v_accvgpr_write_b32 acc163, v19                    // 
v_accvgpr_read_b32 v5, acc208                      // glvw 15 mb 0 tt1 3 r 0
v_accvgpr_read_b32 v6, acc224                      // glvw 15 mb 0 tt1 3 r 0
v_accvgpr_read_b32 v7, acc240                      // glvw 15 mb 0 tt1 3 r 0
v_accvgpr_read_b32 v8, acc193                      // glvw 15 mb 0 tt1 3 r 0
v_accvgpr_read_b32 v9, acc209                      // glvw 15 mb 0 tt1 3 r 0
v_accvgpr_read_b32 v10, acc225                     // glvw 15 mb 0 tt1 3 r 0
v_accvgpr_read_b32 v11, acc241                     // glvw 15 mb 0 tt1 3 r 0
v_accvgpr_read_b32 v12, acc194                     // glvw 15 mb 0 tt1 3 r 0
v_accvgpr_read_b32 v13, acc210                     // glvw 15 mb 0 tt1 3 r 0
v_accvgpr_read_b32 v14, acc226                     // glvw 15 mb 0 tt1 3 r 0
v_accvgpr_read_b32 v15, acc242                     // glvw 15 mb 0 tt1 3 r 0
v_accvgpr_read_b32 v16, acc195                     // glvw 15 mb 0 tt1 3 r 0
v_accvgpr_read_b32 v17, acc211                     // glvw 15 mb 0 tt1 3 r 0
v_accvgpr_read_b32 v18, acc227                     // glvw 15 mb 0 tt1 3 r 0
v_accvgpr_read_b32 v19, acc243                     // glvw 15 mb 0 tt1 3 r 0
s_nop 1                                            // v_accvgpr read vgpr after write vgpr: 2 wait states
v_accvgpr_write_b32 acc192, v5                     // 
v_accvgpr_write_b32 acc208, v6                     // 
v_accvgpr_write_b32 acc224, v7                     // 
v_accvgpr_write_b32 acc240, v8                     // 
v_accvgpr_write_b32 acc193, v9                     // 
v_accvgpr_write_b32 acc209, v10                    // 
v_accvgpr_write_b32 acc225, v11                    // 
v_accvgpr_write_b32 acc241, v12                    // 
v_accvgpr_write_b32 acc194, v13                    // 
v_accvgpr_write_b32 acc210, v14                    // 
v_accvgpr_write_b32 acc226, v15                    // 
v_accvgpr_write_b32 acc242, v16                    // 
v_accvgpr_write_b32 acc195, v17                    // 
v_accvgpr_write_b32 acc211, v18                    // 
v_accvgpr_write_b32 acc227, v19                    // 
s_mov_b64 s[42:43], 0xFFFFFFFFFFFFFFFF             // to restore all threads active
s_or_saveexec_b64 vcc, s[42:43]                    // all threads active
s_branch label_0168                                // done shifting


/******************************************/
/* shift d0 r=15 mb=1 vw0                 */
/******************************************/
label_0163: // r15 mb1 vw0 
s_mov_b32 s42, 2                                   // 
_v_cmpx_eq_u32 s[42:43], v4, s42                   // is thread in edge glvw region
v_and_b32 v0, 63, v[vgprSerial]                    // permute register between threads
v_lshlrev_b32 v0, 2, v0                            // permute register between threads
v_accvgpr_read_b32 v5, acc20                       // glvw 15 mb 1 tt1 0 r 0
v_accvgpr_read_b32 v6, acc36                       // glvw 15 mb 1 tt1 0 r 0
v_accvgpr_read_b32 v7, acc52                       // glvw 15 mb 1 tt1 0 r 0
v_accvgpr_read_b32 v8, acc5                        // glvw 15 mb 1 tt1 0 r 0
v_accvgpr_read_b32 v9, acc21                       // glvw 15 mb 1 tt1 0 r 0
v_accvgpr_read_b32 v10, acc37                      // glvw 15 mb 1 tt1 0 r 0
v_accvgpr_read_b32 v11, acc53                      // glvw 15 mb 1 tt1 0 r 0
v_accvgpr_read_b32 v12, acc6                       // glvw 15 mb 1 tt1 0 r 0
v_accvgpr_read_b32 v13, acc22                      // glvw 15 mb 1 tt1 0 r 0
v_accvgpr_read_b32 v14, acc38                      // glvw 15 mb 1 tt1 0 r 0
v_accvgpr_read_b32 v15, acc54                      // glvw 15 mb 1 tt1 0 r 0
v_accvgpr_read_b32 v16, acc7                       // glvw 15 mb 1 tt1 0 r 0
v_accvgpr_read_b32 v17, acc23                      // glvw 15 mb 1 tt1 0 r 0
v_accvgpr_read_b32 v18, acc39                      // glvw 15 mb 1 tt1 0 r 0
v_accvgpr_read_b32 v19, acc55                      // glvw 15 mb 1 tt1 0 r 0
s_nop 1                                            // v_accvgpr read vgpr after write vgpr: 2 wait states
v_accvgpr_write_b32 acc4, v5                       // 
v_accvgpr_write_b32 acc20, v6                      // 
v_accvgpr_write_b32 acc36, v7                      // 
v_accvgpr_write_b32 acc52, v8                      // 
v_accvgpr_write_b32 acc5, v9                       // 
v_accvgpr_write_b32 acc21, v10                     // 
v_accvgpr_write_b32 acc37, v11                     // 
v_accvgpr_write_b32 acc53, v12                     // 
v_accvgpr_write_b32 acc6, v13                      // 
v_accvgpr_write_b32 acc22, v14                     // 
v_accvgpr_write_b32 acc38, v15                     // 
v_accvgpr_write_b32 acc54, v16                     // 
v_accvgpr_write_b32 acc7, v17                      // 
v_accvgpr_write_b32 acc23, v18                     // 
v_accvgpr_write_b32 acc39, v19                     // 
v_accvgpr_read_b32 v5, acc84                       // glvw 15 mb 1 tt1 1 r 0
v_accvgpr_read_b32 v6, acc100                      // glvw 15 mb 1 tt1 1 r 0
v_accvgpr_read_b32 v7, acc116                      // glvw 15 mb 1 tt1 1 r 0
v_accvgpr_read_b32 v8, acc69                       // glvw 15 mb 1 tt1 1 r 0
v_accvgpr_read_b32 v9, acc85                       // glvw 15 mb 1 tt1 1 r 0
v_accvgpr_read_b32 v10, acc101                     // glvw 15 mb 1 tt1 1 r 0
v_accvgpr_read_b32 v11, acc117                     // glvw 15 mb 1 tt1 1 r 0
v_accvgpr_read_b32 v12, acc70                      // glvw 15 mb 1 tt1 1 r 0
v_accvgpr_read_b32 v13, acc86                      // glvw 15 mb 1 tt1 1 r 0
v_accvgpr_read_b32 v14, acc102                     // glvw 15 mb 1 tt1 1 r 0
v_accvgpr_read_b32 v15, acc118                     // glvw 15 mb 1 tt1 1 r 0
v_accvgpr_read_b32 v16, acc71                      // glvw 15 mb 1 tt1 1 r 0
v_accvgpr_read_b32 v17, acc87                      // glvw 15 mb 1 tt1 1 r 0
v_accvgpr_read_b32 v18, acc103                     // glvw 15 mb 1 tt1 1 r 0
v_accvgpr_read_b32 v19, acc119                     // glvw 15 mb 1 tt1 1 r 0
s_nop 1                                            // v_accvgpr read vgpr after write vgpr: 2 wait states
v_accvgpr_write_b32 acc68, v5                      // 
v_accvgpr_write_b32 acc84, v6                      // 
v_accvgpr_write_b32 acc100, v7                     // 
v_accvgpr_write_b32 acc116, v8                     // 
v_accvgpr_write_b32 acc69, v9                      // 
v_accvgpr_write_b32 acc85, v10                     // 
v_accvgpr_write_b32 acc101, v11                    // 
v_accvgpr_write_b32 acc117, v12                    // 
v_accvgpr_write_b32 acc70, v13                     // 
v_accvgpr_write_b32 acc86, v14                     // 
v_accvgpr_write_b32 acc102, v15                    // 
v_accvgpr_write_b32 acc118, v16                    // 
v_accvgpr_write_b32 acc71, v17                     // 
v_accvgpr_write_b32 acc87, v18                     // 
v_accvgpr_write_b32 acc103, v19                    // 
v_accvgpr_read_b32 v5, acc148                      // glvw 15 mb 1 tt1 2 r 0
v_accvgpr_read_b32 v6, acc164                      // glvw 15 mb 1 tt1 2 r 0
v_accvgpr_read_b32 v7, acc180                      // glvw 15 mb 1 tt1 2 r 0
v_accvgpr_read_b32 v8, acc133                      // glvw 15 mb 1 tt1 2 r 0
v_accvgpr_read_b32 v9, acc149                      // glvw 15 mb 1 tt1 2 r 0
v_accvgpr_read_b32 v10, acc165                     // glvw 15 mb 1 tt1 2 r 0
v_accvgpr_read_b32 v11, acc181                     // glvw 15 mb 1 tt1 2 r 0
v_accvgpr_read_b32 v12, acc134                     // glvw 15 mb 1 tt1 2 r 0
v_accvgpr_read_b32 v13, acc150                     // glvw 15 mb 1 tt1 2 r 0
v_accvgpr_read_b32 v14, acc166                     // glvw 15 mb 1 tt1 2 r 0
v_accvgpr_read_b32 v15, acc182                     // glvw 15 mb 1 tt1 2 r 0
v_accvgpr_read_b32 v16, acc135                     // glvw 15 mb 1 tt1 2 r 0
v_accvgpr_read_b32 v17, acc151                     // glvw 15 mb 1 tt1 2 r 0
v_accvgpr_read_b32 v18, acc167                     // glvw 15 mb 1 tt1 2 r 0
v_accvgpr_read_b32 v19, acc183                     // glvw 15 mb 1 tt1 2 r 0
s_nop 1                                            // v_accvgpr read vgpr after write vgpr: 2 wait states
v_accvgpr_write_b32 acc132, v5                     // 
v_accvgpr_write_b32 acc148, v6                     // 
v_accvgpr_write_b32 acc164, v7                     // 
v_accvgpr_write_b32 acc180, v8                     // 
v_accvgpr_write_b32 acc133, v9                     // 
v_accvgpr_write_b32 acc149, v10                    // 
v_accvgpr_write_b32 acc165, v11                    // 
v_accvgpr_write_b32 acc181, v12                    // 
v_accvgpr_write_b32 acc134, v13                    // 
v_accvgpr_write_b32 acc150, v14                    // 
v_accvgpr_write_b32 acc166, v15                    // 
v_accvgpr_write_b32 acc182, v16                    // 
v_accvgpr_write_b32 acc135, v17                    // 
v_accvgpr_write_b32 acc151, v18                    // 
v_accvgpr_write_b32 acc167, v19                    // 
v_accvgpr_read_b32 v5, acc212                      // glvw 15 mb 1 tt1 3 r 0
v_accvgpr_read_b32 v6, acc228                      // glvw 15 mb 1 tt1 3 r 0
v_accvgpr_read_b32 v7, acc244                      // glvw 15 mb 1 tt1 3 r 0
v_accvgpr_read_b32 v8, acc197                      // glvw 15 mb 1 tt1 3 r 0
v_accvgpr_read_b32 v9, acc213                      // glvw 15 mb 1 tt1 3 r 0
v_accvgpr_read_b32 v10, acc229                     // glvw 15 mb 1 tt1 3 r 0
v_accvgpr_read_b32 v11, acc245                     // glvw 15 mb 1 tt1 3 r 0
v_accvgpr_read_b32 v12, acc198                     // glvw 15 mb 1 tt1 3 r 0
v_accvgpr_read_b32 v13, acc214                     // glvw 15 mb 1 tt1 3 r 0
v_accvgpr_read_b32 v14, acc230                     // glvw 15 mb 1 tt1 3 r 0
v_accvgpr_read_b32 v15, acc246                     // glvw 15 mb 1 tt1 3 r 0
v_accvgpr_read_b32 v16, acc199                     // glvw 15 mb 1 tt1 3 r 0
v_accvgpr_read_b32 v17, acc215                     // glvw 15 mb 1 tt1 3 r 0
v_accvgpr_read_b32 v18, acc231                     // glvw 15 mb 1 tt1 3 r 0
v_accvgpr_read_b32 v19, acc247                     // glvw 15 mb 1 tt1 3 r 0
s_nop 1                                            // v_accvgpr read vgpr after write vgpr: 2 wait states
v_accvgpr_write_b32 acc196, v5                     // 
v_accvgpr_write_b32 acc212, v6                     // 
v_accvgpr_write_b32 acc228, v7                     // 
v_accvgpr_write_b32 acc244, v8                     // 
v_accvgpr_write_b32 acc197, v9                     // 
v_accvgpr_write_b32 acc213, v10                    // 
v_accvgpr_write_b32 acc229, v11                    // 
v_accvgpr_write_b32 acc245, v12                    // 
v_accvgpr_write_b32 acc198, v13                    // 
v_accvgpr_write_b32 acc214, v14                    // 
v_accvgpr_write_b32 acc230, v15                    // 
v_accvgpr_write_b32 acc246, v16                    // 
v_accvgpr_write_b32 acc199, v17                    // 
v_accvgpr_write_b32 acc215, v18                    // 
v_accvgpr_write_b32 acc231, v19                    // 
s_mov_b64 s[42:43], 0xFFFFFFFFFFFFFFFF             // to restore all threads active
s_or_saveexec_b64 vcc, s[42:43]                    // all threads active
s_branch label_0168                                // done shifting


/******************************************/
/* shift d0 r=15 mb=2 vw0                 */
/******************************************/
label_0165: // r15 mb2 vw0 
s_mov_b32 s42, 4                                   // 
_v_cmpx_eq_u32 s[42:43], v4, s42                   // is thread in edge glvw region
v_and_b32 v0, 63, v[vgprSerial]                    // permute register between threads
v_lshlrev_b32 v0, 2, v0                            // permute register between threads
v_accvgpr_read_b32 v5, acc24                       // glvw 15 mb 2 tt1 0 r 0
v_accvgpr_read_b32 v6, acc40                       // glvw 15 mb 2 tt1 0 r 0
v_accvgpr_read_b32 v7, acc56                       // glvw 15 mb 2 tt1 0 r 0
v_accvgpr_read_b32 v8, acc9                        // glvw 15 mb 2 tt1 0 r 0
v_accvgpr_read_b32 v9, acc25                       // glvw 15 mb 2 tt1 0 r 0
v_accvgpr_read_b32 v10, acc41                      // glvw 15 mb 2 tt1 0 r 0
v_accvgpr_read_b32 v11, acc57                      // glvw 15 mb 2 tt1 0 r 0
v_accvgpr_read_b32 v12, acc10                      // glvw 15 mb 2 tt1 0 r 0
v_accvgpr_read_b32 v13, acc26                      // glvw 15 mb 2 tt1 0 r 0
v_accvgpr_read_b32 v14, acc42                      // glvw 15 mb 2 tt1 0 r 0
v_accvgpr_read_b32 v15, acc58                      // glvw 15 mb 2 tt1 0 r 0
v_accvgpr_read_b32 v16, acc11                      // glvw 15 mb 2 tt1 0 r 0
v_accvgpr_read_b32 v17, acc27                      // glvw 15 mb 2 tt1 0 r 0
v_accvgpr_read_b32 v18, acc43                      // glvw 15 mb 2 tt1 0 r 0
v_accvgpr_read_b32 v19, acc59                      // glvw 15 mb 2 tt1 0 r 0
s_nop 1                                            // v_accvgpr read vgpr after write vgpr: 2 wait states
v_accvgpr_write_b32 acc8, v5                       // 
v_accvgpr_write_b32 acc24, v6                      // 
v_accvgpr_write_b32 acc40, v7                      // 
v_accvgpr_write_b32 acc56, v8                      // 
v_accvgpr_write_b32 acc9, v9                       // 
v_accvgpr_write_b32 acc25, v10                     // 
v_accvgpr_write_b32 acc41, v11                     // 
v_accvgpr_write_b32 acc57, v12                     // 
v_accvgpr_write_b32 acc10, v13                     // 
v_accvgpr_write_b32 acc26, v14                     // 
v_accvgpr_write_b32 acc42, v15                     // 
v_accvgpr_write_b32 acc58, v16                     // 
v_accvgpr_write_b32 acc11, v17                     // 
v_accvgpr_write_b32 acc27, v18                     // 
v_accvgpr_write_b32 acc43, v19                     // 
v_accvgpr_read_b32 v5, acc88                       // glvw 15 mb 2 tt1 1 r 0
v_accvgpr_read_b32 v6, acc104                      // glvw 15 mb 2 tt1 1 r 0
v_accvgpr_read_b32 v7, acc120                      // glvw 15 mb 2 tt1 1 r 0
v_accvgpr_read_b32 v8, acc73                       // glvw 15 mb 2 tt1 1 r 0
v_accvgpr_read_b32 v9, acc89                       // glvw 15 mb 2 tt1 1 r 0
v_accvgpr_read_b32 v10, acc105                     // glvw 15 mb 2 tt1 1 r 0
v_accvgpr_read_b32 v11, acc121                     // glvw 15 mb 2 tt1 1 r 0
v_accvgpr_read_b32 v12, acc74                      // glvw 15 mb 2 tt1 1 r 0
v_accvgpr_read_b32 v13, acc90                      // glvw 15 mb 2 tt1 1 r 0
v_accvgpr_read_b32 v14, acc106                     // glvw 15 mb 2 tt1 1 r 0
v_accvgpr_read_b32 v15, acc122                     // glvw 15 mb 2 tt1 1 r 0
v_accvgpr_read_b32 v16, acc75                      // glvw 15 mb 2 tt1 1 r 0
v_accvgpr_read_b32 v17, acc91                      // glvw 15 mb 2 tt1 1 r 0
v_accvgpr_read_b32 v18, acc107                     // glvw 15 mb 2 tt1 1 r 0
v_accvgpr_read_b32 v19, acc123                     // glvw 15 mb 2 tt1 1 r 0
s_nop 1                                            // v_accvgpr read vgpr after write vgpr: 2 wait states
v_accvgpr_write_b32 acc72, v5                      // 
v_accvgpr_write_b32 acc88, v6                      // 
v_accvgpr_write_b32 acc104, v7                     // 
v_accvgpr_write_b32 acc120, v8                     // 
v_accvgpr_write_b32 acc73, v9                      // 
v_accvgpr_write_b32 acc89, v10                     // 
v_accvgpr_write_b32 acc105, v11                    // 
v_accvgpr_write_b32 acc121, v12                    // 
v_accvgpr_write_b32 acc74, v13                     // 
v_accvgpr_write_b32 acc90, v14                     // 
v_accvgpr_write_b32 acc106, v15                    // 
v_accvgpr_write_b32 acc122, v16                    // 
v_accvgpr_write_b32 acc75, v17                     // 
v_accvgpr_write_b32 acc91, v18                     // 
v_accvgpr_write_b32 acc107, v19                    // 
v_accvgpr_read_b32 v5, acc152                      // glvw 15 mb 2 tt1 2 r 0
v_accvgpr_read_b32 v6, acc168                      // glvw 15 mb 2 tt1 2 r 0
v_accvgpr_read_b32 v7, acc184                      // glvw 15 mb 2 tt1 2 r 0
v_accvgpr_read_b32 v8, acc137                      // glvw 15 mb 2 tt1 2 r 0
v_accvgpr_read_b32 v9, acc153                      // glvw 15 mb 2 tt1 2 r 0
v_accvgpr_read_b32 v10, acc169                     // glvw 15 mb 2 tt1 2 r 0
v_accvgpr_read_b32 v11, acc185                     // glvw 15 mb 2 tt1 2 r 0
v_accvgpr_read_b32 v12, acc138                     // glvw 15 mb 2 tt1 2 r 0
v_accvgpr_read_b32 v13, acc154                     // glvw 15 mb 2 tt1 2 r 0
v_accvgpr_read_b32 v14, acc170                     // glvw 15 mb 2 tt1 2 r 0
v_accvgpr_read_b32 v15, acc186                     // glvw 15 mb 2 tt1 2 r 0
v_accvgpr_read_b32 v16, acc139                     // glvw 15 mb 2 tt1 2 r 0
v_accvgpr_read_b32 v17, acc155                     // glvw 15 mb 2 tt1 2 r 0
v_accvgpr_read_b32 v18, acc171                     // glvw 15 mb 2 tt1 2 r 0
v_accvgpr_read_b32 v19, acc187                     // glvw 15 mb 2 tt1 2 r 0
s_nop 1                                            // v_accvgpr read vgpr after write vgpr: 2 wait states
v_accvgpr_write_b32 acc136, v5                     // 
v_accvgpr_write_b32 acc152, v6                     // 
v_accvgpr_write_b32 acc168, v7                     // 
v_accvgpr_write_b32 acc184, v8                     // 
v_accvgpr_write_b32 acc137, v9                     // 
v_accvgpr_write_b32 acc153, v10                    // 
v_accvgpr_write_b32 acc169, v11                    // 
v_accvgpr_write_b32 acc185, v12                    // 
v_accvgpr_write_b32 acc138, v13                    // 
v_accvgpr_write_b32 acc154, v14                    // 
v_accvgpr_write_b32 acc170, v15                    // 
v_accvgpr_write_b32 acc186, v16                    // 
v_accvgpr_write_b32 acc139, v17                    // 
v_accvgpr_write_b32 acc155, v18                    // 
v_accvgpr_write_b32 acc171, v19                    // 
v_accvgpr_read_b32 v5, acc216                      // glvw 15 mb 2 tt1 3 r 0
v_accvgpr_read_b32 v6, acc232                      // glvw 15 mb 2 tt1 3 r 0
v_accvgpr_read_b32 v7, acc248                      // glvw 15 mb 2 tt1 3 r 0
v_accvgpr_read_b32 v8, acc201                      // glvw 15 mb 2 tt1 3 r 0
v_accvgpr_read_b32 v9, acc217                      // glvw 15 mb 2 tt1 3 r 0
v_accvgpr_read_b32 v10, acc233                     // glvw 15 mb 2 tt1 3 r 0
v_accvgpr_read_b32 v11, acc249                     // glvw 15 mb 2 tt1 3 r 0
v_accvgpr_read_b32 v12, acc202                     // glvw 15 mb 2 tt1 3 r 0
v_accvgpr_read_b32 v13, acc218                     // glvw 15 mb 2 tt1 3 r 0
v_accvgpr_read_b32 v14, acc234                     // glvw 15 mb 2 tt1 3 r 0
v_accvgpr_read_b32 v15, acc250                     // glvw 15 mb 2 tt1 3 r 0
v_accvgpr_read_b32 v16, acc203                     // glvw 15 mb 2 tt1 3 r 0
v_accvgpr_read_b32 v17, acc219                     // glvw 15 mb 2 tt1 3 r 0
v_accvgpr_read_b32 v18, acc235                     // glvw 15 mb 2 tt1 3 r 0
v_accvgpr_read_b32 v19, acc251                     // glvw 15 mb 2 tt1 3 r 0
s_nop 1                                            // v_accvgpr read vgpr after write vgpr: 2 wait states
v_accvgpr_write_b32 acc200, v5                     // 
v_accvgpr_write_b32 acc216, v6                     // 
v_accvgpr_write_b32 acc232, v7                     // 
v_accvgpr_write_b32 acc248, v8                     // 
v_accvgpr_write_b32 acc201, v9                     // 
v_accvgpr_write_b32 acc217, v10                    // 
v_accvgpr_write_b32 acc233, v11                    // 
v_accvgpr_write_b32 acc249, v12                    // 
v_accvgpr_write_b32 acc202, v13                    // 
v_accvgpr_write_b32 acc218, v14                    // 
v_accvgpr_write_b32 acc234, v15                    // 
v_accvgpr_write_b32 acc250, v16                    // 
v_accvgpr_write_b32 acc203, v17                    // 
v_accvgpr_write_b32 acc219, v18                    // 
v_accvgpr_write_b32 acc235, v19                    // 
s_mov_b64 s[42:43], 0xFFFFFFFFFFFFFFFF             // to restore all threads active
s_or_saveexec_b64 vcc, s[42:43]                    // all threads active
s_branch label_0168                                // done shifting


/******************************************/
/* shift d0 r=15 mb=3 vw0                 */
/******************************************/
label_0167: // r15 mb3 vw0 
s_mov_b32 s42, 6                                   // 
_v_cmpx_eq_u32 s[42:43], v4, s42                   // is thread in edge glvw region
v_and_b32 v0, 63, v[vgprSerial]                    // permute register between threads
v_lshlrev_b32 v0, 2, v0                            // permute register between threads
v_accvgpr_read_b32 v5, acc28                       // glvw 15 mb 3 tt1 0 r 0
v_accvgpr_read_b32 v6, acc44                       // glvw 15 mb 3 tt1 0 r 0
v_accvgpr_read_b32 v7, acc60                       // glvw 15 mb 3 tt1 0 r 0
v_accvgpr_read_b32 v8, acc13                       // glvw 15 mb 3 tt1 0 r 0
v_accvgpr_read_b32 v9, acc29                       // glvw 15 mb 3 tt1 0 r 0
v_accvgpr_read_b32 v10, acc45                      // glvw 15 mb 3 tt1 0 r 0
v_accvgpr_read_b32 v11, acc61                      // glvw 15 mb 3 tt1 0 r 0
v_accvgpr_read_b32 v12, acc14                      // glvw 15 mb 3 tt1 0 r 0
v_accvgpr_read_b32 v13, acc30                      // glvw 15 mb 3 tt1 0 r 0
v_accvgpr_read_b32 v14, acc46                      // glvw 15 mb 3 tt1 0 r 0
v_accvgpr_read_b32 v15, acc62                      // glvw 15 mb 3 tt1 0 r 0
v_accvgpr_read_b32 v16, acc15                      // glvw 15 mb 3 tt1 0 r 0
v_accvgpr_read_b32 v17, acc31                      // glvw 15 mb 3 tt1 0 r 0
v_accvgpr_read_b32 v18, acc47                      // glvw 15 mb 3 tt1 0 r 0
v_accvgpr_read_b32 v19, acc63                      // glvw 15 mb 3 tt1 0 r 0
s_nop 1                                            // v_accvgpr read vgpr after write vgpr: 2 wait states
v_accvgpr_write_b32 acc12, v5                      // 
v_accvgpr_write_b32 acc28, v6                      // 
v_accvgpr_write_b32 acc44, v7                      // 
v_accvgpr_write_b32 acc60, v8                      // 
v_accvgpr_write_b32 acc13, v9                      // 
v_accvgpr_write_b32 acc29, v10                     // 
v_accvgpr_write_b32 acc45, v11                     // 
v_accvgpr_write_b32 acc61, v12                     // 
v_accvgpr_write_b32 acc14, v13                     // 
v_accvgpr_write_b32 acc30, v14                     // 
v_accvgpr_write_b32 acc46, v15                     // 
v_accvgpr_write_b32 acc62, v16                     // 
v_accvgpr_write_b32 acc15, v17                     // 
v_accvgpr_write_b32 acc31, v18                     // 
v_accvgpr_write_b32 acc47, v19                     // 
v_accvgpr_read_b32 v5, acc92                       // glvw 15 mb 3 tt1 1 r 0
v_accvgpr_read_b32 v6, acc108                      // glvw 15 mb 3 tt1 1 r 0
v_accvgpr_read_b32 v7, acc124                      // glvw 15 mb 3 tt1 1 r 0
v_accvgpr_read_b32 v8, acc77                       // glvw 15 mb 3 tt1 1 r 0
v_accvgpr_read_b32 v9, acc93                       // glvw 15 mb 3 tt1 1 r 0
v_accvgpr_read_b32 v10, acc109                     // glvw 15 mb 3 tt1 1 r 0
v_accvgpr_read_b32 v11, acc125                     // glvw 15 mb 3 tt1 1 r 0
v_accvgpr_read_b32 v12, acc78                      // glvw 15 mb 3 tt1 1 r 0
v_accvgpr_read_b32 v13, acc94                      // glvw 15 mb 3 tt1 1 r 0
v_accvgpr_read_b32 v14, acc110                     // glvw 15 mb 3 tt1 1 r 0
v_accvgpr_read_b32 v15, acc126                     // glvw 15 mb 3 tt1 1 r 0
v_accvgpr_read_b32 v16, acc79                      // glvw 15 mb 3 tt1 1 r 0
v_accvgpr_read_b32 v17, acc95                      // glvw 15 mb 3 tt1 1 r 0
v_accvgpr_read_b32 v18, acc111                     // glvw 15 mb 3 tt1 1 r 0
v_accvgpr_read_b32 v19, acc127                     // glvw 15 mb 3 tt1 1 r 0
s_nop 1                                            // v_accvgpr read vgpr after write vgpr: 2 wait states
v_accvgpr_write_b32 acc76, v5                      // 
v_accvgpr_write_b32 acc92, v6                      // 
v_accvgpr_write_b32 acc108, v7                     // 
v_accvgpr_write_b32 acc124, v8                     // 
v_accvgpr_write_b32 acc77, v9                      // 
v_accvgpr_write_b32 acc93, v10                     // 
v_accvgpr_write_b32 acc109, v11                    // 
v_accvgpr_write_b32 acc125, v12                    // 
v_accvgpr_write_b32 acc78, v13                     // 
v_accvgpr_write_b32 acc94, v14                     // 
v_accvgpr_write_b32 acc110, v15                    // 
v_accvgpr_write_b32 acc126, v16                    // 
v_accvgpr_write_b32 acc79, v17                     // 
v_accvgpr_write_b32 acc95, v18                     // 
v_accvgpr_write_b32 acc111, v19                    // 
v_accvgpr_read_b32 v5, acc156                      // glvw 15 mb 3 tt1 2 r 0
v_accvgpr_read_b32 v6, acc172                      // glvw 15 mb 3 tt1 2 r 0
v_accvgpr_read_b32 v7, acc188                      // glvw 15 mb 3 tt1 2 r 0
v_accvgpr_read_b32 v8, acc141                      // glvw 15 mb 3 tt1 2 r 0
v_accvgpr_read_b32 v9, acc157                      // glvw 15 mb 3 tt1 2 r 0
v_accvgpr_read_b32 v10, acc173                     // glvw 15 mb 3 tt1 2 r 0
v_accvgpr_read_b32 v11, acc189                     // glvw 15 mb 3 tt1 2 r 0
v_accvgpr_read_b32 v12, acc142                     // glvw 15 mb 3 tt1 2 r 0
v_accvgpr_read_b32 v13, acc158                     // glvw 15 mb 3 tt1 2 r 0
v_accvgpr_read_b32 v14, acc174                     // glvw 15 mb 3 tt1 2 r 0
v_accvgpr_read_b32 v15, acc190                     // glvw 15 mb 3 tt1 2 r 0
v_accvgpr_read_b32 v16, acc143                     // glvw 15 mb 3 tt1 2 r 0
v_accvgpr_read_b32 v17, acc159                     // glvw 15 mb 3 tt1 2 r 0
v_accvgpr_read_b32 v18, acc175                     // glvw 15 mb 3 tt1 2 r 0
v_accvgpr_read_b32 v19, acc191                     // glvw 15 mb 3 tt1 2 r 0
s_nop 1                                            // v_accvgpr read vgpr after write vgpr: 2 wait states
v_accvgpr_write_b32 acc140, v5                     // 
v_accvgpr_write_b32 acc156, v6                     // 
v_accvgpr_write_b32 acc172, v7                     // 
v_accvgpr_write_b32 acc188, v8                     // 
v_accvgpr_write_b32 acc141, v9                     // 
v_accvgpr_write_b32 acc157, v10                    // 
v_accvgpr_write_b32 acc173, v11                    // 
v_accvgpr_write_b32 acc189, v12                    // 
v_accvgpr_write_b32 acc142, v13                    // 
v_accvgpr_write_b32 acc158, v14                    // 
v_accvgpr_write_b32 acc174, v15                    // 
v_accvgpr_write_b32 acc190, v16                    // 
v_accvgpr_write_b32 acc143, v17                    // 
v_accvgpr_write_b32 acc159, v18                    // 
v_accvgpr_write_b32 acc175, v19                    // 
v_accvgpr_read_b32 v5, acc220                      // glvw 15 mb 3 tt1 3 r 0
v_accvgpr_read_b32 v6, acc236                      // glvw 15 mb 3 tt1 3 r 0
v_accvgpr_read_b32 v7, acc252                      // glvw 15 mb 3 tt1 3 r 0
v_accvgpr_read_b32 v8, acc205                      // glvw 15 mb 3 tt1 3 r 0
v_accvgpr_read_b32 v9, acc221                      // glvw 15 mb 3 tt1 3 r 0
v_accvgpr_read_b32 v10, acc237                     // glvw 15 mb 3 tt1 3 r 0
v_accvgpr_read_b32 v11, acc253                     // glvw 15 mb 3 tt1 3 r 0
v_accvgpr_read_b32 v12, acc206                     // glvw 15 mb 3 tt1 3 r 0
v_accvgpr_read_b32 v13, acc222                     // glvw 15 mb 3 tt1 3 r 0
v_accvgpr_read_b32 v14, acc238                     // glvw 15 mb 3 tt1 3 r 0
v_accvgpr_read_b32 v15, acc254                     // glvw 15 mb 3 tt1 3 r 0
v_accvgpr_read_b32 v16, acc207                     // glvw 15 mb 3 tt1 3 r 0
v_accvgpr_read_b32 v17, acc223                     // glvw 15 mb 3 tt1 3 r 0
v_accvgpr_read_b32 v18, acc239                     // glvw 15 mb 3 tt1 3 r 0
v_accvgpr_read_b32 v19, acc255                     // glvw 15 mb 3 tt1 3 r 0
s_nop 1                                            // v_accvgpr read vgpr after write vgpr: 2 wait states
v_accvgpr_write_b32 acc204, v5                     // 
v_accvgpr_write_b32 acc220, v6                     // 
v_accvgpr_write_b32 acc236, v7                     // 
v_accvgpr_write_b32 acc252, v8                     // 
v_accvgpr_write_b32 acc205, v9                     // 
v_accvgpr_write_b32 acc221, v10                    // 
v_accvgpr_write_b32 acc237, v11                    // 
v_accvgpr_write_b32 acc253, v12                    // 
v_accvgpr_write_b32 acc206, v13                    // 
v_accvgpr_write_b32 acc222, v14                    // 
v_accvgpr_write_b32 acc238, v15                    // 
v_accvgpr_write_b32 acc254, v16                    // 
v_accvgpr_write_b32 acc207, v17                    // 
v_accvgpr_write_b32 acc223, v18                    // 
v_accvgpr_write_b32 acc239, v19                    // 
s_mov_b64 s[42:43], 0xFFFFFFFFFFFFFFFF             // to restore all threads active
s_or_saveexec_b64 vcc, s[42:43]                    // all threads active
s_branch label_0168                                // done shifting

label_0168: // end shift0


/* shift vector components d1 */

v_mov_b32 v1, s[sgprWorkGroup1]                    // 
v_mul_i32_i24 v1, -0x100, v1                       // wg*MT
_v_add_co_u32 v1, vcc, s[sgprSizesFree+1], v1      // wgMT = Size - wg*MT
v_mov_b32 v2, 0x100                                // MT
v_min_u32 v1, v2, v1                               // wgMT = (wgMT < MT) ? wgMT : MT
v_lshrrev_b32 v0, 7, v[vgprSerial]                 // v0 = v[vgprSerial] / 128
v_and_b32 v3, 1, v0                                // v3 = v0 % 2
v_lshrrev_b32 v0, 7, v1                            // v0 = v1 / 128
v_and_b32 v4, 1, v0                                // v4 = v0 % 2
v_cmp_eq_u32 s[42:43], v4, v3                      // wave_id == block_belong_to_wave?
v_cndmask_b32 v1, v2, v1, s[42:43]                 // wgMT = (wgMT < MT) ? wgMT : MT

/* mbReg: which mb block need to shift, mb(matrixInstCoal(32) * VectorWidth(4)) */
v_lshrrev_b32 v2, 7, v1                            // v2 = v1 / 128
v_lshlrev_b32 v4, 0x0, v3                          // v4 = v3 * 1
_v_sub_u32 v2, v2, v4                              // 

/* gbReg: glvw block id */
v_lshrrev_b32 v4, 4, v1                            // v4 = v1 / 16

/* tgbReg: glvw block id */
v_lshrrev_b32 v0, 0, v[vgprSerial]                 // v0 = v[vgprSerial] / 1
v_and_b32 v5, 31, v0                               // v5 = v0 % 32
v_lshlrev_b32 v5, 0x2, v5                          // v5 = v5 * 4
v_lshrrev_b32 v5, 4, v5                            // v5 = v5 / 16
v_lshlrev_b32 v3, 0x3, v3                          // v3 = v3 * 8
_v_add_co_u32 v5, vcc, v3, v5                      // tgbReg = (tid_coal * continOut) / GLVW
_v_sub_u32 v4, v4, v5                              // 

/* vwReg: glvw in which vw block? */
v_and_b32 v3, 3, v1                                // permute register between threads
v_lshrrev_b32 v3, 4, v3                            // permute register between threads

/* rReg : reminder of M_size % GlobalLoadVectorWidth */
v_and_b32 v5, 15, v1                               // v5 = v1 % 16
v_cmp_eq_u32 vcc, v5, 0x1                          // wgMT%VW == 1
s_cbranch_vccnz label_0177                         // branch to shift d1 r=1
v_cmp_eq_u32 vcc, v5, 0x2                          // wgMT%VW == 2
s_cbranch_vccnz label_0180                         // branch to shift d1 r=2
v_cmp_eq_u32 vcc, v5, 0x3                          // wgMT%VW == 3
s_cbranch_vccnz label_0183                         // branch to shift d1 r=3
v_cmp_eq_u32 vcc, v5, 0x4                          // wgMT%VW == 4
s_cbranch_vccnz label_0186                         // branch to shift d1 r=4
v_cmp_eq_u32 vcc, v5, 0x5                          // wgMT%VW == 5
s_cbranch_vccnz label_0189                         // branch to shift d1 r=5
v_cmp_eq_u32 vcc, v5, 0x6                          // wgMT%VW == 6
s_cbranch_vccnz label_0192                         // branch to shift d1 r=6
v_cmp_eq_u32 vcc, v5, 0x7                          // wgMT%VW == 7
s_cbranch_vccnz label_0195                         // branch to shift d1 r=7
v_cmp_eq_u32 vcc, v5, 0x8                          // wgMT%VW == 8
s_cbranch_vccnz label_0198                         // branch to shift d1 r=8
v_cmp_eq_u32 vcc, v5, 0x9                          // wgMT%VW == 9
s_cbranch_vccnz label_0201                         // branch to shift d1 r=9
v_cmp_eq_u32 vcc, v5, 0xa                          // wgMT%VW == 10
s_cbranch_vccnz label_0204                         // branch to shift d1 r=10
v_cmp_eq_u32 vcc, v5, 0xb                          // wgMT%VW == 11
s_cbranch_vccnz label_0207                         // branch to shift d1 r=11
v_cmp_eq_u32 vcc, v5, 0xc                          // wgMT%VW == 12
s_cbranch_vccnz label_0210                         // branch to shift d1 r=12
v_cmp_eq_u32 vcc, v5, 0xd                          // wgMT%VW == 13
s_cbranch_vccnz label_0213                         // branch to shift d1 r=13
v_cmp_eq_u32 vcc, v5, 0xe                          // wgMT%VW == 14
s_cbranch_vccnz label_0216                         // branch to shift d1 r=14
v_cmp_eq_u32 vcc, v5, 0xf                          // wgMT%VW == 15
s_cbranch_vccnz label_0219                         // branch to shift d1 r=15
s_branch label_0222                                // no shifting

/******************************************/
/* shift d1 r=1                           */
/******************************************/
label_0177:
v_cmp_eq_u32 vcc, v2, 0x0                          // 
s_cbranch_vccnz label_0178                         // branch to shift d1 r1 mb0

/******************************************/
/* shift d1 r=2                           */
/******************************************/
label_0180:
v_cmp_eq_u32 vcc, v2, 0x0                          // 
s_cbranch_vccnz label_0181                         // branch to shift d1 r2 mb0

/******************************************/
/* shift d1 r=3                           */
/******************************************/
label_0183:
v_cmp_eq_u32 vcc, v2, 0x0                          // 
s_cbranch_vccnz label_0184                         // branch to shift d1 r3 mb0

/******************************************/
/* shift d1 r=4                           */
/******************************************/
label_0186:
v_cmp_eq_u32 vcc, v2, 0x0                          // 
s_cbranch_vccnz label_0187                         // branch to shift d1 r4 mb0

/******************************************/
/* shift d1 r=5                           */
/******************************************/
label_0189:
v_cmp_eq_u32 vcc, v2, 0x0                          // 
s_cbranch_vccnz label_0190                         // branch to shift d1 r5 mb0

/******************************************/
/* shift d1 r=6                           */
/******************************************/
label_0192:
v_cmp_eq_u32 vcc, v2, 0x0                          // 
s_cbranch_vccnz label_0193                         // branch to shift d1 r6 mb0

/******************************************/
/* shift d1 r=7                           */
/******************************************/
label_0195:
v_cmp_eq_u32 vcc, v2, 0x0                          // 
s_cbranch_vccnz label_0196                         // branch to shift d1 r7 mb0

/******************************************/
/* shift d1 r=8                           */
/******************************************/
label_0198:
v_cmp_eq_u32 vcc, v2, 0x0                          // 
s_cbranch_vccnz label_0199                         // branch to shift d1 r8 mb0

/******************************************/
/* shift d1 r=9                           */
/******************************************/
label_0201:
v_cmp_eq_u32 vcc, v2, 0x0                          // 
s_cbranch_vccnz label_0202                         // branch to shift d1 r9 mb0

/******************************************/
/* shift d1 r=10                          */
/******************************************/
label_0204:
v_cmp_eq_u32 vcc, v2, 0x0                          // 
s_cbranch_vccnz label_0205                         // branch to shift d1 r10 mb0

/******************************************/
/* shift d1 r=11                          */
/******************************************/
label_0207:
v_cmp_eq_u32 vcc, v2, 0x0                          // 
s_cbranch_vccnz label_0208                         // branch to shift d1 r11 mb0

/******************************************/
/* shift d1 r=12                          */
/******************************************/
label_0210:
v_cmp_eq_u32 vcc, v2, 0x0                          // 
s_cbranch_vccnz label_0211                         // branch to shift d1 r12 mb0

/******************************************/
/* shift d1 r=13                          */
/******************************************/
label_0213:
v_cmp_eq_u32 vcc, v2, 0x0                          // 
s_cbranch_vccnz label_0214                         // branch to shift d1 r13 mb0

/******************************************/
/* shift d1 r=14                          */
/******************************************/
label_0216:
v_cmp_eq_u32 vcc, v2, 0x0                          // 
s_cbranch_vccnz label_0217                         // branch to shift d1 r14 mb0

/******************************************/
/* shift d1 r=15                          */
/******************************************/
label_0219:
v_cmp_eq_u32 vcc, v2, 0x0                          // 
s_cbranch_vccnz label_0220                         // branch to shift d1 r15 mb0

/******************************************/
/* shift d1 r=1 mb=0                      */
/******************************************/
label_0178: // r1 mb0 
v_cmp_eq_u32 vcc, v3, 0x0                          // 
s_cbranch_vccnz label_0179                         // branch to shift d1 r1 mb0 vw0

/******************************************/
/* shift d1 r=2 mb=0                      */
/******************************************/
label_0181: // r2 mb0 
v_cmp_eq_u32 vcc, v3, 0x0                          // 
s_cbranch_vccnz label_0182                         // branch to shift d1 r2 mb0 vw0

/******************************************/
/* shift d1 r=3 mb=0                      */
/******************************************/
label_0184: // r3 mb0 
v_cmp_eq_u32 vcc, v3, 0x0                          // 
s_cbranch_vccnz label_0185                         // branch to shift d1 r3 mb0 vw0

/******************************************/
/* shift d1 r=4 mb=0                      */
/******************************************/
label_0187: // r4 mb0 
v_cmp_eq_u32 vcc, v3, 0x0                          // 
s_cbranch_vccnz label_0188                         // branch to shift d1 r4 mb0 vw0

/******************************************/
/* shift d1 r=5 mb=0                      */
/******************************************/
label_0190: // r5 mb0 
v_cmp_eq_u32 vcc, v3, 0x0                          // 
s_cbranch_vccnz label_0191                         // branch to shift d1 r5 mb0 vw0

/******************************************/
/* shift d1 r=6 mb=0                      */
/******************************************/
label_0193: // r6 mb0 
v_cmp_eq_u32 vcc, v3, 0x0                          // 
s_cbranch_vccnz label_0194                         // branch to shift d1 r6 mb0 vw0

/******************************************/
/* shift d1 r=7 mb=0                      */
/******************************************/
label_0196: // r7 mb0 
v_cmp_eq_u32 vcc, v3, 0x0                          // 
s_cbranch_vccnz label_0197                         // branch to shift d1 r7 mb0 vw0

/******************************************/
/* shift d1 r=8 mb=0                      */
/******************************************/
label_0199: // r8 mb0 
v_cmp_eq_u32 vcc, v3, 0x0                          // 
s_cbranch_vccnz label_0200                         // branch to shift d1 r8 mb0 vw0

/******************************************/
/* shift d1 r=9 mb=0                      */
/******************************************/
label_0202: // r9 mb0 
v_cmp_eq_u32 vcc, v3, 0x0                          // 
s_cbranch_vccnz label_0203                         // branch to shift d1 r9 mb0 vw0

/******************************************/
/* shift d1 r=10 mb=0                     */
/******************************************/
label_0205: // r10 mb0 
v_cmp_eq_u32 vcc, v3, 0x0                          // 
s_cbranch_vccnz label_0206                         // branch to shift d1 r10 mb0 vw0

/******************************************/
/* shift d1 r=11 mb=0                     */
/******************************************/
label_0208: // r11 mb0 
v_cmp_eq_u32 vcc, v3, 0x0                          // 
s_cbranch_vccnz label_0209                         // branch to shift d1 r11 mb0 vw0

/******************************************/
/* shift d1 r=12 mb=0                     */
/******************************************/
label_0211: // r12 mb0 
v_cmp_eq_u32 vcc, v3, 0x0                          // 
s_cbranch_vccnz label_0212                         // branch to shift d1 r12 mb0 vw0

/******************************************/
/* shift d1 r=13 mb=0                     */
/******************************************/
label_0214: // r13 mb0 
v_cmp_eq_u32 vcc, v3, 0x0                          // 
s_cbranch_vccnz label_0215                         // branch to shift d1 r13 mb0 vw0

/******************************************/
/* shift d1 r=14 mb=0                     */
/******************************************/
label_0217: // r14 mb0 
v_cmp_eq_u32 vcc, v3, 0x0                          // 
s_cbranch_vccnz label_0218                         // branch to shift d1 r14 mb0 vw0

/******************************************/
/* shift d1 r=15 mb=0                     */
/******************************************/
label_0220: // r15 mb0 
v_cmp_eq_u32 vcc, v3, 0x0                          // 
s_cbranch_vccnz label_0221                         // branch to shift d1 r15 mb0 vw0

/******************************************/
/* shift d1 r=1 mb=0 vw0                  */
/******************************************/
label_0179: // r1 mb0 vw0 
s_mov_b32 s42, 0                                   // 
_v_cmpx_eq_u32 s[42:43], v4, s42                   // is thread in edge glvw region
v_and_b32 v0, 63, v[vgprSerial]                    // permute register between threads
v_lshlrev_b32 v0, 2, v0                            // permute register between threads
v_accvgpr_read_b32 v5, acc192                      // glvw 1 mb 0 tt1 0 r 0
s_nop 1                                            // v_accvgpr read vgpr after write vgpr: 2 wait states
ds_bpermute_b32 v5, v0, v5, offset:12              // permute edge values
s_waitcnt 0                                        // wait for swizzle operation
v_accvgpr_write_b32 acc0, v5                       // 
v_accvgpr_read_b32 v5, acc208                      // glvw 1 mb 0 tt1 1 r 0
s_nop 1                                            // v_accvgpr read vgpr after write vgpr: 2 wait states
ds_bpermute_b32 v5, v0, v5, offset:12              // permute edge values
s_waitcnt 0                                        // wait for swizzle operation
v_accvgpr_write_b32 acc16, v5                      // 
v_accvgpr_read_b32 v5, acc224                      // glvw 1 mb 0 tt1 2 r 0
s_nop 1                                            // v_accvgpr read vgpr after write vgpr: 2 wait states
ds_bpermute_b32 v5, v0, v5, offset:12              // permute edge values
s_waitcnt 0                                        // wait for swizzle operation
v_accvgpr_write_b32 acc32, v5                      // 
v_accvgpr_read_b32 v5, acc240                      // glvw 1 mb 0 tt1 3 r 0
s_nop 1                                            // v_accvgpr read vgpr after write vgpr: 2 wait states
ds_bpermute_b32 v5, v0, v5, offset:12              // permute edge values
s_waitcnt 0                                        // wait for swizzle operation
v_accvgpr_write_b32 acc48, v5                      // 
v_accvgpr_read_b32 v5, acc193                      // glvw 1 mb 0 tt1 4 r 0
s_nop 1                                            // v_accvgpr read vgpr after write vgpr: 2 wait states
ds_bpermute_b32 v5, v0, v5, offset:12              // permute edge values
s_waitcnt 0                                        // wait for swizzle operation
v_accvgpr_write_b32 acc1, v5                       // 
v_accvgpr_read_b32 v5, acc209                      // glvw 1 mb 0 tt1 5 r 0
s_nop 1                                            // v_accvgpr read vgpr after write vgpr: 2 wait states
ds_bpermute_b32 v5, v0, v5, offset:12              // permute edge values
s_waitcnt 0                                        // wait for swizzle operation
v_accvgpr_write_b32 acc17, v5                      // 
v_accvgpr_read_b32 v5, acc225                      // glvw 1 mb 0 tt1 6 r 0
s_nop 1                                            // v_accvgpr read vgpr after write vgpr: 2 wait states
ds_bpermute_b32 v5, v0, v5, offset:12              // permute edge values
s_waitcnt 0                                        // wait for swizzle operation
v_accvgpr_write_b32 acc33, v5                      // 
v_accvgpr_read_b32 v5, acc241                      // glvw 1 mb 0 tt1 7 r 0
s_nop 1                                            // v_accvgpr read vgpr after write vgpr: 2 wait states
ds_bpermute_b32 v5, v0, v5, offset:12              // permute edge values
s_waitcnt 0                                        // wait for swizzle operation
v_accvgpr_write_b32 acc49, v5                      // 
v_accvgpr_read_b32 v5, acc194                      // glvw 1 mb 0 tt1 8 r 0
s_nop 1                                            // v_accvgpr read vgpr after write vgpr: 2 wait states
ds_bpermute_b32 v5, v0, v5, offset:12              // permute edge values
s_waitcnt 0                                        // wait for swizzle operation
v_accvgpr_write_b32 acc2, v5                       // 
v_accvgpr_read_b32 v5, acc210                      // glvw 1 mb 0 tt1 9 r 0
s_nop 1                                            // v_accvgpr read vgpr after write vgpr: 2 wait states
ds_bpermute_b32 v5, v0, v5, offset:12              // permute edge values
s_waitcnt 0                                        // wait for swizzle operation
v_accvgpr_write_b32 acc18, v5                      // 
v_accvgpr_read_b32 v5, acc226                      // glvw 1 mb 0 tt1 10 r 0
s_nop 1                                            // v_accvgpr read vgpr after write vgpr: 2 wait states
ds_bpermute_b32 v5, v0, v5, offset:12              // permute edge values
s_waitcnt 0                                        // wait for swizzle operation
v_accvgpr_write_b32 acc34, v5                      // 
v_accvgpr_read_b32 v5, acc242                      // glvw 1 mb 0 tt1 11 r 0
s_nop 1                                            // v_accvgpr read vgpr after write vgpr: 2 wait states
ds_bpermute_b32 v5, v0, v5, offset:12              // permute edge values
s_waitcnt 0                                        // wait for swizzle operation
v_accvgpr_write_b32 acc50, v5                      // 
v_accvgpr_read_b32 v5, acc195                      // glvw 1 mb 0 tt1 12 r 0
s_nop 1                                            // v_accvgpr read vgpr after write vgpr: 2 wait states
ds_bpermute_b32 v5, v0, v5, offset:12              // permute edge values
s_waitcnt 0                                        // wait for swizzle operation
v_accvgpr_write_b32 acc3, v5                       // 
v_accvgpr_read_b32 v5, acc211                      // glvw 1 mb 0 tt1 13 r 0
s_nop 1                                            // v_accvgpr read vgpr after write vgpr: 2 wait states
ds_bpermute_b32 v5, v0, v5, offset:12              // permute edge values
s_waitcnt 0                                        // wait for swizzle operation
v_accvgpr_write_b32 acc19, v5                      // 
v_accvgpr_read_b32 v5, acc227                      // glvw 1 mb 0 tt1 14 r 0
s_nop 1                                            // v_accvgpr read vgpr after write vgpr: 2 wait states
ds_bpermute_b32 v5, v0, v5, offset:12              // permute edge values
s_waitcnt 0                                        // wait for swizzle operation
v_accvgpr_write_b32 acc35, v5                      // 
v_accvgpr_read_b32 v5, acc243                      // glvw 1 mb 0 tt1 15 r 0
s_nop 1                                            // v_accvgpr read vgpr after write vgpr: 2 wait states
ds_bpermute_b32 v5, v0, v5, offset:12              // permute edge values
s_waitcnt 0                                        // wait for swizzle operation
v_accvgpr_write_b32 acc51, v5                      // 
v_accvgpr_read_b32 v5, acc196                      // glvw 1 mb 0 tt1 16 r 0
s_nop 1                                            // v_accvgpr read vgpr after write vgpr: 2 wait states
ds_bpermute_b32 v5, v0, v5, offset:12              // permute edge values
s_waitcnt 0                                        // wait for swizzle operation
v_accvgpr_write_b32 acc4, v5                       // 
v_accvgpr_read_b32 v5, acc212                      // glvw 1 mb 0 tt1 17 r 0
s_nop 1                                            // v_accvgpr read vgpr after write vgpr: 2 wait states
ds_bpermute_b32 v5, v0, v5, offset:12              // permute edge values
s_waitcnt 0                                        // wait for swizzle operation
v_accvgpr_write_b32 acc20, v5                      // 
v_accvgpr_read_b32 v5, acc228                      // glvw 1 mb 0 tt1 18 r 0
s_nop 1                                            // v_accvgpr read vgpr after write vgpr: 2 wait states
ds_bpermute_b32 v5, v0, v5, offset:12              // permute edge values
s_waitcnt 0                                        // wait for swizzle operation
v_accvgpr_write_b32 acc36, v5                      // 
v_accvgpr_read_b32 v5, acc244                      // glvw 1 mb 0 tt1 19 r 0
s_nop 1                                            // v_accvgpr read vgpr after write vgpr: 2 wait states
ds_bpermute_b32 v5, v0, v5, offset:12              // permute edge values
s_waitcnt 0                                        // wait for swizzle operation
v_accvgpr_write_b32 acc52, v5                      // 
v_accvgpr_read_b32 v5, acc197                      // glvw 1 mb 0 tt1 20 r 0
s_nop 1                                            // v_accvgpr read vgpr after write vgpr: 2 wait states
ds_bpermute_b32 v5, v0, v5, offset:12              // permute edge values
s_waitcnt 0                                        // wait for swizzle operation
v_accvgpr_write_b32 acc5, v5                       // 
v_accvgpr_read_b32 v5, acc213                      // glvw 1 mb 0 tt1 21 r 0
s_nop 1                                            // v_accvgpr read vgpr after write vgpr: 2 wait states
ds_bpermute_b32 v5, v0, v5, offset:12              // permute edge values
s_waitcnt 0                                        // wait for swizzle operation
v_accvgpr_write_b32 acc21, v5                      // 
v_accvgpr_read_b32 v5, acc229                      // glvw 1 mb 0 tt1 22 r 0
s_nop 1                                            // v_accvgpr read vgpr after write vgpr: 2 wait states
ds_bpermute_b32 v5, v0, v5, offset:12              // permute edge values
s_waitcnt 0                                        // wait for swizzle operation
v_accvgpr_write_b32 acc37, v5                      // 
v_accvgpr_read_b32 v5, acc245                      // glvw 1 mb 0 tt1 23 r 0
s_nop 1                                            // v_accvgpr read vgpr after write vgpr: 2 wait states
ds_bpermute_b32 v5, v0, v5, offset:12              // permute edge values
s_waitcnt 0                                        // wait for swizzle operation
v_accvgpr_write_b32 acc53, v5                      // 
v_accvgpr_read_b32 v5, acc198                      // glvw 1 mb 0 tt1 24 r 0
s_nop 1                                            // v_accvgpr read vgpr after write vgpr: 2 wait states
ds_bpermute_b32 v5, v0, v5, offset:12              // permute edge values
s_waitcnt 0                                        // wait for swizzle operation
v_accvgpr_write_b32 acc6, v5                       // 
v_accvgpr_read_b32 v5, acc214                      // glvw 1 mb 0 tt1 25 r 0
s_nop 1                                            // v_accvgpr read vgpr after write vgpr: 2 wait states
ds_bpermute_b32 v5, v0, v5, offset:12              // permute edge values
s_waitcnt 0                                        // wait for swizzle operation
v_accvgpr_write_b32 acc22, v5                      // 
v_accvgpr_read_b32 v5, acc230                      // glvw 1 mb 0 tt1 26 r 0
s_nop 1                                            // v_accvgpr read vgpr after write vgpr: 2 wait states
ds_bpermute_b32 v5, v0, v5, offset:12              // permute edge values
s_waitcnt 0                                        // wait for swizzle operation
v_accvgpr_write_b32 acc38, v5                      // 
v_accvgpr_read_b32 v5, acc246                      // glvw 1 mb 0 tt1 27 r 0
s_nop 1                                            // v_accvgpr read vgpr after write vgpr: 2 wait states
ds_bpermute_b32 v5, v0, v5, offset:12              // permute edge values
s_waitcnt 0                                        // wait for swizzle operation
v_accvgpr_write_b32 acc54, v5                      // 
v_accvgpr_read_b32 v5, acc199                      // glvw 1 mb 0 tt1 28 r 0
s_nop 1                                            // v_accvgpr read vgpr after write vgpr: 2 wait states
ds_bpermute_b32 v5, v0, v5, offset:12              // permute edge values
s_waitcnt 0                                        // wait for swizzle operation
v_accvgpr_write_b32 acc7, v5                       // 
v_accvgpr_read_b32 v5, acc215                      // glvw 1 mb 0 tt1 29 r 0
s_nop 1                                            // v_accvgpr read vgpr after write vgpr: 2 wait states
ds_bpermute_b32 v5, v0, v5, offset:12              // permute edge values
s_waitcnt 0                                        // wait for swizzle operation
v_accvgpr_write_b32 acc23, v5                      // 
v_accvgpr_read_b32 v5, acc231                      // glvw 1 mb 0 tt1 30 r 0
s_nop 1                                            // v_accvgpr read vgpr after write vgpr: 2 wait states
ds_bpermute_b32 v5, v0, v5, offset:12              // permute edge values
s_waitcnt 0                                        // wait for swizzle operation
v_accvgpr_write_b32 acc39, v5                      // 
v_accvgpr_read_b32 v5, acc247                      // glvw 1 mb 0 tt1 31 r 0
s_nop 1                                            // v_accvgpr read vgpr after write vgpr: 2 wait states
ds_bpermute_b32 v5, v0, v5, offset:12              // permute edge values
s_waitcnt 0                                        // wait for swizzle operation
v_accvgpr_write_b32 acc55, v5                      // 
v_accvgpr_read_b32 v5, acc200                      // glvw 1 mb 0 tt1 32 r 0
s_nop 1                                            // v_accvgpr read vgpr after write vgpr: 2 wait states
ds_bpermute_b32 v5, v0, v5, offset:12              // permute edge values
s_waitcnt 0                                        // wait for swizzle operation
v_accvgpr_write_b32 acc8, v5                       // 
v_accvgpr_read_b32 v5, acc216                      // glvw 1 mb 0 tt1 33 r 0
s_nop 1                                            // v_accvgpr read vgpr after write vgpr: 2 wait states
ds_bpermute_b32 v5, v0, v5, offset:12              // permute edge values
s_waitcnt 0                                        // wait for swizzle operation
v_accvgpr_write_b32 acc24, v5                      // 
v_accvgpr_read_b32 v5, acc232                      // glvw 1 mb 0 tt1 34 r 0
s_nop 1                                            // v_accvgpr read vgpr after write vgpr: 2 wait states
ds_bpermute_b32 v5, v0, v5, offset:12              // permute edge values
s_waitcnt 0                                        // wait for swizzle operation
v_accvgpr_write_b32 acc40, v5                      // 
v_accvgpr_read_b32 v5, acc248                      // glvw 1 mb 0 tt1 35 r 0
s_nop 1                                            // v_accvgpr read vgpr after write vgpr: 2 wait states
ds_bpermute_b32 v5, v0, v5, offset:12              // permute edge values
s_waitcnt 0                                        // wait for swizzle operation
v_accvgpr_write_b32 acc56, v5                      // 
v_accvgpr_read_b32 v5, acc201                      // glvw 1 mb 0 tt1 36 r 0
s_nop 1                                            // v_accvgpr read vgpr after write vgpr: 2 wait states
ds_bpermute_b32 v5, v0, v5, offset:12              // permute edge values
s_waitcnt 0                                        // wait for swizzle operation
v_accvgpr_write_b32 acc9, v5                       // 
v_accvgpr_read_b32 v5, acc217                      // glvw 1 mb 0 tt1 37 r 0
s_nop 1                                            // v_accvgpr read vgpr after write vgpr: 2 wait states
ds_bpermute_b32 v5, v0, v5, offset:12              // permute edge values
s_waitcnt 0                                        // wait for swizzle operation
v_accvgpr_write_b32 acc25, v5                      // 
v_accvgpr_read_b32 v5, acc233                      // glvw 1 mb 0 tt1 38 r 0
s_nop 1                                            // v_accvgpr read vgpr after write vgpr: 2 wait states
ds_bpermute_b32 v5, v0, v5, offset:12              // permute edge values
s_waitcnt 0                                        // wait for swizzle operation
v_accvgpr_write_b32 acc41, v5                      // 
v_accvgpr_read_b32 v5, acc249                      // glvw 1 mb 0 tt1 39 r 0
s_nop 1                                            // v_accvgpr read vgpr after write vgpr: 2 wait states
ds_bpermute_b32 v5, v0, v5, offset:12              // permute edge values
s_waitcnt 0                                        // wait for swizzle operation
v_accvgpr_write_b32 acc57, v5                      // 
v_accvgpr_read_b32 v5, acc202                      // glvw 1 mb 0 tt1 40 r 0
s_nop 1                                            // v_accvgpr read vgpr after write vgpr: 2 wait states
ds_bpermute_b32 v5, v0, v5, offset:12              // permute edge values
s_waitcnt 0                                        // wait for swizzle operation
v_accvgpr_write_b32 acc10, v5                      // 
v_accvgpr_read_b32 v5, acc218                      // glvw 1 mb 0 tt1 41 r 0
s_nop 1                                            // v_accvgpr read vgpr after write vgpr: 2 wait states
ds_bpermute_b32 v5, v0, v5, offset:12              // permute edge values
s_waitcnt 0                                        // wait for swizzle operation
v_accvgpr_write_b32 acc26, v5                      // 
v_accvgpr_read_b32 v5, acc234                      // glvw 1 mb 0 tt1 42 r 0
s_nop 1                                            // v_accvgpr read vgpr after write vgpr: 2 wait states
ds_bpermute_b32 v5, v0, v5, offset:12              // permute edge values
s_waitcnt 0                                        // wait for swizzle operation
v_accvgpr_write_b32 acc42, v5                      // 
v_accvgpr_read_b32 v5, acc250                      // glvw 1 mb 0 tt1 43 r 0
s_nop 1                                            // v_accvgpr read vgpr after write vgpr: 2 wait states
ds_bpermute_b32 v5, v0, v5, offset:12              // permute edge values
s_waitcnt 0                                        // wait for swizzle operation
v_accvgpr_write_b32 acc58, v5                      // 
v_accvgpr_read_b32 v5, acc203                      // glvw 1 mb 0 tt1 44 r 0
s_nop 1                                            // v_accvgpr read vgpr after write vgpr: 2 wait states
ds_bpermute_b32 v5, v0, v5, offset:12              // permute edge values
s_waitcnt 0                                        // wait for swizzle operation
v_accvgpr_write_b32 acc11, v5                      // 
v_accvgpr_read_b32 v5, acc219                      // glvw 1 mb 0 tt1 45 r 0
s_nop 1                                            // v_accvgpr read vgpr after write vgpr: 2 wait states
ds_bpermute_b32 v5, v0, v5, offset:12              // permute edge values
s_waitcnt 0                                        // wait for swizzle operation
v_accvgpr_write_b32 acc27, v5                      // 
v_accvgpr_read_b32 v5, acc235                      // glvw 1 mb 0 tt1 46 r 0
s_nop 1                                            // v_accvgpr read vgpr after write vgpr: 2 wait states
ds_bpermute_b32 v5, v0, v5, offset:12              // permute edge values
s_waitcnt 0                                        // wait for swizzle operation
v_accvgpr_write_b32 acc43, v5                      // 
v_accvgpr_read_b32 v5, acc251                      // glvw 1 mb 0 tt1 47 r 0
s_nop 1                                            // v_accvgpr read vgpr after write vgpr: 2 wait states
ds_bpermute_b32 v5, v0, v5, offset:12              // permute edge values
s_waitcnt 0                                        // wait for swizzle operation
v_accvgpr_write_b32 acc59, v5                      // 
v_accvgpr_read_b32 v5, acc204                      // glvw 1 mb 0 tt1 48 r 0
s_nop 1                                            // v_accvgpr read vgpr after write vgpr: 2 wait states
ds_bpermute_b32 v5, v0, v5, offset:12              // permute edge values
s_waitcnt 0                                        // wait for swizzle operation
v_accvgpr_write_b32 acc12, v5                      // 
v_accvgpr_read_b32 v5, acc220                      // glvw 1 mb 0 tt1 49 r 0
s_nop 1                                            // v_accvgpr read vgpr after write vgpr: 2 wait states
ds_bpermute_b32 v5, v0, v5, offset:12              // permute edge values
s_waitcnt 0                                        // wait for swizzle operation
v_accvgpr_write_b32 acc28, v5                      // 
v_accvgpr_read_b32 v5, acc236                      // glvw 1 mb 0 tt1 50 r 0
s_nop 1                                            // v_accvgpr read vgpr after write vgpr: 2 wait states
ds_bpermute_b32 v5, v0, v5, offset:12              // permute edge values
s_waitcnt 0                                        // wait for swizzle operation
v_accvgpr_write_b32 acc44, v5                      // 
v_accvgpr_read_b32 v5, acc252                      // glvw 1 mb 0 tt1 51 r 0
s_nop 1                                            // v_accvgpr read vgpr after write vgpr: 2 wait states
ds_bpermute_b32 v5, v0, v5, offset:12              // permute edge values
s_waitcnt 0                                        // wait for swizzle operation
v_accvgpr_write_b32 acc60, v5                      // 
v_accvgpr_read_b32 v5, acc205                      // glvw 1 mb 0 tt1 52 r 0
s_nop 1                                            // v_accvgpr read vgpr after write vgpr: 2 wait states
ds_bpermute_b32 v5, v0, v5, offset:12              // permute edge values
s_waitcnt 0                                        // wait for swizzle operation
v_accvgpr_write_b32 acc13, v5                      // 
v_accvgpr_read_b32 v5, acc221                      // glvw 1 mb 0 tt1 53 r 0
s_nop 1                                            // v_accvgpr read vgpr after write vgpr: 2 wait states
ds_bpermute_b32 v5, v0, v5, offset:12              // permute edge values
s_waitcnt 0                                        // wait for swizzle operation
v_accvgpr_write_b32 acc29, v5                      // 
v_accvgpr_read_b32 v5, acc237                      // glvw 1 mb 0 tt1 54 r 0
s_nop 1                                            // v_accvgpr read vgpr after write vgpr: 2 wait states
ds_bpermute_b32 v5, v0, v5, offset:12              // permute edge values
s_waitcnt 0                                        // wait for swizzle operation
v_accvgpr_write_b32 acc45, v5                      // 
v_accvgpr_read_b32 v5, acc253                      // glvw 1 mb 0 tt1 55 r 0
s_nop 1                                            // v_accvgpr read vgpr after write vgpr: 2 wait states
ds_bpermute_b32 v5, v0, v5, offset:12              // permute edge values
s_waitcnt 0                                        // wait for swizzle operation
v_accvgpr_write_b32 acc61, v5                      // 
v_accvgpr_read_b32 v5, acc206                      // glvw 1 mb 0 tt1 56 r 0
s_nop 1                                            // v_accvgpr read vgpr after write vgpr: 2 wait states
ds_bpermute_b32 v5, v0, v5, offset:12              // permute edge values
s_waitcnt 0                                        // wait for swizzle operation
v_accvgpr_write_b32 acc14, v5                      // 
v_accvgpr_read_b32 v5, acc222                      // glvw 1 mb 0 tt1 57 r 0
s_nop 1                                            // v_accvgpr read vgpr after write vgpr: 2 wait states
ds_bpermute_b32 v5, v0, v5, offset:12              // permute edge values
s_waitcnt 0                                        // wait for swizzle operation
v_accvgpr_write_b32 acc30, v5                      // 
v_accvgpr_read_b32 v5, acc238                      // glvw 1 mb 0 tt1 58 r 0
s_nop 1                                            // v_accvgpr read vgpr after write vgpr: 2 wait states
ds_bpermute_b32 v5, v0, v5, offset:12              // permute edge values
s_waitcnt 0                                        // wait for swizzle operation
v_accvgpr_write_b32 acc46, v5                      // 
v_accvgpr_read_b32 v5, acc254                      // glvw 1 mb 0 tt1 59 r 0
s_nop 1                                            // v_accvgpr read vgpr after write vgpr: 2 wait states
ds_bpermute_b32 v5, v0, v5, offset:12              // permute edge values
s_waitcnt 0                                        // wait for swizzle operation
v_accvgpr_write_b32 acc62, v5                      // 
v_accvgpr_read_b32 v5, acc207                      // glvw 1 mb 0 tt1 60 r 0
s_nop 1                                            // v_accvgpr read vgpr after write vgpr: 2 wait states
ds_bpermute_b32 v5, v0, v5, offset:12              // permute edge values
s_waitcnt 0                                        // wait for swizzle operation
v_accvgpr_write_b32 acc15, v5                      // 
v_accvgpr_read_b32 v5, acc223                      // glvw 1 mb 0 tt1 61 r 0
s_nop 1                                            // v_accvgpr read vgpr after write vgpr: 2 wait states
ds_bpermute_b32 v5, v0, v5, offset:12              // permute edge values
s_waitcnt 0                                        // wait for swizzle operation
v_accvgpr_write_b32 acc31, v5                      // 
v_accvgpr_read_b32 v5, acc239                      // glvw 1 mb 0 tt1 62 r 0
s_nop 1                                            // v_accvgpr read vgpr after write vgpr: 2 wait states
ds_bpermute_b32 v5, v0, v5, offset:12              // permute edge values
s_waitcnt 0                                        // wait for swizzle operation
v_accvgpr_write_b32 acc47, v5                      // 
v_accvgpr_read_b32 v5, acc255                      // glvw 1 mb 0 tt1 63 r 0
s_nop 1                                            // v_accvgpr read vgpr after write vgpr: 2 wait states
ds_bpermute_b32 v5, v0, v5, offset:12              // permute edge values
s_waitcnt 0                                        // wait for swizzle operation
v_accvgpr_write_b32 acc63, v5                      // 
s_mov_b64 s[42:43], 0xFFFFFFFFFFFFFFFF             // to restore all threads active
s_or_saveexec_b64 vcc, s[42:43]                    // all threads active
s_branch label_0222                                // done shifting


/******************************************/
/* shift d1 r=2 mb=0 vw0                  */
/******************************************/
label_0182: // r2 mb0 vw0 
s_mov_b32 s42, 0                                   // 
_v_cmpx_eq_u32 s[42:43], v4, s42                   // is thread in edge glvw region
v_and_b32 v0, 63, v[vgprSerial]                    // permute register between threads
v_lshlrev_b32 v0, 2, v0                            // permute register between threads
v_accvgpr_read_b32 v5, acc128                      // glvw 2 mb 0 tt1 0 r 0
v_accvgpr_read_b32 v6, acc192                      // glvw 2 mb 0 tt1 0 r 0
s_nop 1                                            // v_accvgpr read vgpr after write vgpr: 2 wait states
ds_bpermute_b32 v5, v0, v5, offset:12              // permute edge values
ds_bpermute_b32 v6, v0, v6, offset:12              // permute edge values
s_waitcnt 0                                        // wait for swizzle operation
v_accvgpr_write_b32 acc0, v5                       // 
v_accvgpr_write_b32 acc64, v6                      // 
v_accvgpr_read_b32 v5, acc144                      // glvw 2 mb 0 tt1 1 r 0
v_accvgpr_read_b32 v6, acc208                      // glvw 2 mb 0 tt1 1 r 0
s_nop 1                                            // v_accvgpr read vgpr after write vgpr: 2 wait states
ds_bpermute_b32 v5, v0, v5, offset:12              // permute edge values
ds_bpermute_b32 v6, v0, v6, offset:12              // permute edge values
s_waitcnt 0                                        // wait for swizzle operation
v_accvgpr_write_b32 acc16, v5                      // 
v_accvgpr_write_b32 acc80, v6                      // 
v_accvgpr_read_b32 v5, acc160                      // glvw 2 mb 0 tt1 2 r 0
v_accvgpr_read_b32 v6, acc224                      // glvw 2 mb 0 tt1 2 r 0
s_nop 1                                            // v_accvgpr read vgpr after write vgpr: 2 wait states
ds_bpermute_b32 v5, v0, v5, offset:12              // permute edge values
ds_bpermute_b32 v6, v0, v6, offset:12              // permute edge values
s_waitcnt 0                                        // wait for swizzle operation
v_accvgpr_write_b32 acc32, v5                      // 
v_accvgpr_write_b32 acc96, v6                      // 
v_accvgpr_read_b32 v5, acc176                      // glvw 2 mb 0 tt1 3 r 0
v_accvgpr_read_b32 v6, acc240                      // glvw 2 mb 0 tt1 3 r 0
s_nop 1                                            // v_accvgpr read vgpr after write vgpr: 2 wait states
ds_bpermute_b32 v5, v0, v5, offset:12              // permute edge values
ds_bpermute_b32 v6, v0, v6, offset:12              // permute edge values
s_waitcnt 0                                        // wait for swizzle operation
v_accvgpr_write_b32 acc48, v5                      // 
v_accvgpr_write_b32 acc112, v6                     // 
v_accvgpr_read_b32 v5, acc129                      // glvw 2 mb 0 tt1 4 r 0
v_accvgpr_read_b32 v6, acc193                      // glvw 2 mb 0 tt1 4 r 0
s_nop 1                                            // v_accvgpr read vgpr after write vgpr: 2 wait states
ds_bpermute_b32 v5, v0, v5, offset:12              // permute edge values
ds_bpermute_b32 v6, v0, v6, offset:12              // permute edge values
s_waitcnt 0                                        // wait for swizzle operation
v_accvgpr_write_b32 acc1, v5                       // 
v_accvgpr_write_b32 acc65, v6                      // 
v_accvgpr_read_b32 v5, acc145                      // glvw 2 mb 0 tt1 5 r 0
v_accvgpr_read_b32 v6, acc209                      // glvw 2 mb 0 tt1 5 r 0
s_nop 1                                            // v_accvgpr read vgpr after write vgpr: 2 wait states
ds_bpermute_b32 v5, v0, v5, offset:12              // permute edge values
ds_bpermute_b32 v6, v0, v6, offset:12              // permute edge values
s_waitcnt 0                                        // wait for swizzle operation
v_accvgpr_write_b32 acc17, v5                      // 
v_accvgpr_write_b32 acc81, v6                      // 
v_accvgpr_read_b32 v5, acc161                      // glvw 2 mb 0 tt1 6 r 0
v_accvgpr_read_b32 v6, acc225                      // glvw 2 mb 0 tt1 6 r 0
s_nop 1                                            // v_accvgpr read vgpr after write vgpr: 2 wait states
ds_bpermute_b32 v5, v0, v5, offset:12              // permute edge values
ds_bpermute_b32 v6, v0, v6, offset:12              // permute edge values
s_waitcnt 0                                        // wait for swizzle operation
v_accvgpr_write_b32 acc33, v5                      // 
v_accvgpr_write_b32 acc97, v6                      // 
v_accvgpr_read_b32 v5, acc177                      // glvw 2 mb 0 tt1 7 r 0
v_accvgpr_read_b32 v6, acc241                      // glvw 2 mb 0 tt1 7 r 0
s_nop 1                                            // v_accvgpr read vgpr after write vgpr: 2 wait states
ds_bpermute_b32 v5, v0, v5, offset:12              // permute edge values
ds_bpermute_b32 v6, v0, v6, offset:12              // permute edge values
s_waitcnt 0                                        // wait for swizzle operation
v_accvgpr_write_b32 acc49, v5                      // 
v_accvgpr_write_b32 acc113, v6                     // 
v_accvgpr_read_b32 v5, acc130                      // glvw 2 mb 0 tt1 8 r 0
v_accvgpr_read_b32 v6, acc194                      // glvw 2 mb 0 tt1 8 r 0
s_nop 1                                            // v_accvgpr read vgpr after write vgpr: 2 wait states
ds_bpermute_b32 v5, v0, v5, offset:12              // permute edge values
ds_bpermute_b32 v6, v0, v6, offset:12              // permute edge values
s_waitcnt 0                                        // wait for swizzle operation
v_accvgpr_write_b32 acc2, v5                       // 
v_accvgpr_write_b32 acc66, v6                      // 
v_accvgpr_read_b32 v5, acc146                      // glvw 2 mb 0 tt1 9 r 0
v_accvgpr_read_b32 v6, acc210                      // glvw 2 mb 0 tt1 9 r 0
s_nop 1                                            // v_accvgpr read vgpr after write vgpr: 2 wait states
ds_bpermute_b32 v5, v0, v5, offset:12              // permute edge values
ds_bpermute_b32 v6, v0, v6, offset:12              // permute edge values
s_waitcnt 0                                        // wait for swizzle operation
v_accvgpr_write_b32 acc18, v5                      // 
v_accvgpr_write_b32 acc82, v6                      // 
v_accvgpr_read_b32 v5, acc162                      // glvw 2 mb 0 tt1 10 r 0
v_accvgpr_read_b32 v6, acc226                      // glvw 2 mb 0 tt1 10 r 0
s_nop 1                                            // v_accvgpr read vgpr after write vgpr: 2 wait states
ds_bpermute_b32 v5, v0, v5, offset:12              // permute edge values
ds_bpermute_b32 v6, v0, v6, offset:12              // permute edge values
s_waitcnt 0                                        // wait for swizzle operation
v_accvgpr_write_b32 acc34, v5                      // 
v_accvgpr_write_b32 acc98, v6                      // 
v_accvgpr_read_b32 v5, acc178                      // glvw 2 mb 0 tt1 11 r 0
v_accvgpr_read_b32 v6, acc242                      // glvw 2 mb 0 tt1 11 r 0
s_nop 1                                            // v_accvgpr read vgpr after write vgpr: 2 wait states
ds_bpermute_b32 v5, v0, v5, offset:12              // permute edge values
ds_bpermute_b32 v6, v0, v6, offset:12              // permute edge values
s_waitcnt 0                                        // wait for swizzle operation
v_accvgpr_write_b32 acc50, v5                      // 
v_accvgpr_write_b32 acc114, v6                     // 
v_accvgpr_read_b32 v5, acc131                      // glvw 2 mb 0 tt1 12 r 0
v_accvgpr_read_b32 v6, acc195                      // glvw 2 mb 0 tt1 12 r 0
s_nop 1                                            // v_accvgpr read vgpr after write vgpr: 2 wait states
ds_bpermute_b32 v5, v0, v5, offset:12              // permute edge values
ds_bpermute_b32 v6, v0, v6, offset:12              // permute edge values
s_waitcnt 0                                        // wait for swizzle operation
v_accvgpr_write_b32 acc3, v5                       // 
v_accvgpr_write_b32 acc67, v6                      // 
v_accvgpr_read_b32 v5, acc147                      // glvw 2 mb 0 tt1 13 r 0
v_accvgpr_read_b32 v6, acc211                      // glvw 2 mb 0 tt1 13 r 0
s_nop 1                                            // v_accvgpr read vgpr after write vgpr: 2 wait states
ds_bpermute_b32 v5, v0, v5, offset:12              // permute edge values
ds_bpermute_b32 v6, v0, v6, offset:12              // permute edge values
s_waitcnt 0                                        // wait for swizzle operation
v_accvgpr_write_b32 acc19, v5                      // 
v_accvgpr_write_b32 acc83, v6                      // 
v_accvgpr_read_b32 v5, acc163                      // glvw 2 mb 0 tt1 14 r 0
v_accvgpr_read_b32 v6, acc227                      // glvw 2 mb 0 tt1 14 r 0
s_nop 1                                            // v_accvgpr read vgpr after write vgpr: 2 wait states
ds_bpermute_b32 v5, v0, v5, offset:12              // permute edge values
ds_bpermute_b32 v6, v0, v6, offset:12              // permute edge values
s_waitcnt 0                                        // wait for swizzle operation
v_accvgpr_write_b32 acc35, v5                      // 
v_accvgpr_write_b32 acc99, v6                      // 
v_accvgpr_read_b32 v5, acc179                      // glvw 2 mb 0 tt1 15 r 0
v_accvgpr_read_b32 v6, acc243                      // glvw 2 mb 0 tt1 15 r 0
s_nop 1                                            // v_accvgpr read vgpr after write vgpr: 2 wait states
ds_bpermute_b32 v5, v0, v5, offset:12              // permute edge values
ds_bpermute_b32 v6, v0, v6, offset:12              // permute edge values
s_waitcnt 0                                        // wait for swizzle operation
v_accvgpr_write_b32 acc51, v5                      // 
v_accvgpr_write_b32 acc115, v6                     // 
v_accvgpr_read_b32 v5, acc132                      // glvw 2 mb 0 tt1 16 r 0
v_accvgpr_read_b32 v6, acc196                      // glvw 2 mb 0 tt1 16 r 0
s_nop 1                                            // v_accvgpr read vgpr after write vgpr: 2 wait states
ds_bpermute_b32 v5, v0, v5, offset:12              // permute edge values
ds_bpermute_b32 v6, v0, v6, offset:12              // permute edge values
s_waitcnt 0                                        // wait for swizzle operation
v_accvgpr_write_b32 acc4, v5                       // 
v_accvgpr_write_b32 acc68, v6                      // 
v_accvgpr_read_b32 v5, acc148                      // glvw 2 mb 0 tt1 17 r 0
v_accvgpr_read_b32 v6, acc212                      // glvw 2 mb 0 tt1 17 r 0
s_nop 1                                            // v_accvgpr read vgpr after write vgpr: 2 wait states
ds_bpermute_b32 v5, v0, v5, offset:12              // permute edge values
ds_bpermute_b32 v6, v0, v6, offset:12              // permute edge values
s_waitcnt 0                                        // wait for swizzle operation
v_accvgpr_write_b32 acc20, v5                      // 
v_accvgpr_write_b32 acc84, v6                      // 
v_accvgpr_read_b32 v5, acc164                      // glvw 2 mb 0 tt1 18 r 0
v_accvgpr_read_b32 v6, acc228                      // glvw 2 mb 0 tt1 18 r 0
s_nop 1                                            // v_accvgpr read vgpr after write vgpr: 2 wait states
ds_bpermute_b32 v5, v0, v5, offset:12              // permute edge values
ds_bpermute_b32 v6, v0, v6, offset:12              // permute edge values
s_waitcnt 0                                        // wait for swizzle operation
v_accvgpr_write_b32 acc36, v5                      // 
v_accvgpr_write_b32 acc100, v6                     // 
v_accvgpr_read_b32 v5, acc180                      // glvw 2 mb 0 tt1 19 r 0
v_accvgpr_read_b32 v6, acc244                      // glvw 2 mb 0 tt1 19 r 0
s_nop 1                                            // v_accvgpr read vgpr after write vgpr: 2 wait states
ds_bpermute_b32 v5, v0, v5, offset:12              // permute edge values
ds_bpermute_b32 v6, v0, v6, offset:12              // permute edge values
s_waitcnt 0                                        // wait for swizzle operation
v_accvgpr_write_b32 acc52, v5                      // 
v_accvgpr_write_b32 acc116, v6                     // 
v_accvgpr_read_b32 v5, acc133                      // glvw 2 mb 0 tt1 20 r 0
v_accvgpr_read_b32 v6, acc197                      // glvw 2 mb 0 tt1 20 r 0
s_nop 1                                            // v_accvgpr read vgpr after write vgpr: 2 wait states
ds_bpermute_b32 v5, v0, v5, offset:12              // permute edge values
ds_bpermute_b32 v6, v0, v6, offset:12              // permute edge values
s_waitcnt 0                                        // wait for swizzle operation
v_accvgpr_write_b32 acc5, v5                       // 
v_accvgpr_write_b32 acc69, v6                      // 
v_accvgpr_read_b32 v5, acc149                      // glvw 2 mb 0 tt1 21 r 0
v_accvgpr_read_b32 v6, acc213                      // glvw 2 mb 0 tt1 21 r 0
s_nop 1                                            // v_accvgpr read vgpr after write vgpr: 2 wait states
ds_bpermute_b32 v5, v0, v5, offset:12              // permute edge values
ds_bpermute_b32 v6, v0, v6, offset:12              // permute edge values
s_waitcnt 0                                        // wait for swizzle operation
v_accvgpr_write_b32 acc21, v5                      // 
v_accvgpr_write_b32 acc85, v6                      // 
v_accvgpr_read_b32 v5, acc165                      // glvw 2 mb 0 tt1 22 r 0
v_accvgpr_read_b32 v6, acc229                      // glvw 2 mb 0 tt1 22 r 0
s_nop 1                                            // v_accvgpr read vgpr after write vgpr: 2 wait states
ds_bpermute_b32 v5, v0, v5, offset:12              // permute edge values
ds_bpermute_b32 v6, v0, v6, offset:12              // permute edge values
s_waitcnt 0                                        // wait for swizzle operation
v_accvgpr_write_b32 acc37, v5                      // 
v_accvgpr_write_b32 acc101, v6                     // 
v_accvgpr_read_b32 v5, acc181                      // glvw 2 mb 0 tt1 23 r 0
v_accvgpr_read_b32 v6, acc245                      // glvw 2 mb 0 tt1 23 r 0
s_nop 1                                            // v_accvgpr read vgpr after write vgpr: 2 wait states
ds_bpermute_b32 v5, v0, v5, offset:12              // permute edge values
ds_bpermute_b32 v6, v0, v6, offset:12              // permute edge values
s_waitcnt 0                                        // wait for swizzle operation
v_accvgpr_write_b32 acc53, v5                      // 
v_accvgpr_write_b32 acc117, v6                     // 
v_accvgpr_read_b32 v5, acc134                      // glvw 2 mb 0 tt1 24 r 0
v_accvgpr_read_b32 v6, acc198                      // glvw 2 mb 0 tt1 24 r 0
s_nop 1                                            // v_accvgpr read vgpr after write vgpr: 2 wait states
ds_bpermute_b32 v5, v0, v5, offset:12              // permute edge values
ds_bpermute_b32 v6, v0, v6, offset:12              // permute edge values
s_waitcnt 0                                        // wait for swizzle operation
v_accvgpr_write_b32 acc6, v5                       // 
v_accvgpr_write_b32 acc70, v6                      // 
v_accvgpr_read_b32 v5, acc150                      // glvw 2 mb 0 tt1 25 r 0
v_accvgpr_read_b32 v6, acc214                      // glvw 2 mb 0 tt1 25 r 0
s_nop 1                                            // v_accvgpr read vgpr after write vgpr: 2 wait states
ds_bpermute_b32 v5, v0, v5, offset:12              // permute edge values
ds_bpermute_b32 v6, v0, v6, offset:12              // permute edge values
s_waitcnt 0                                        // wait for swizzle operation
v_accvgpr_write_b32 acc22, v5                      // 
v_accvgpr_write_b32 acc86, v6                      // 
v_accvgpr_read_b32 v5, acc166                      // glvw 2 mb 0 tt1 26 r 0
v_accvgpr_read_b32 v6, acc230                      // glvw 2 mb 0 tt1 26 r 0
s_nop 1                                            // v_accvgpr read vgpr after write vgpr: 2 wait states
ds_bpermute_b32 v5, v0, v5, offset:12              // permute edge values
ds_bpermute_b32 v6, v0, v6, offset:12              // permute edge values
s_waitcnt 0                                        // wait for swizzle operation
v_accvgpr_write_b32 acc38, v5                      // 
v_accvgpr_write_b32 acc102, v6                     // 
v_accvgpr_read_b32 v5, acc182                      // glvw 2 mb 0 tt1 27 r 0
v_accvgpr_read_b32 v6, acc246                      // glvw 2 mb 0 tt1 27 r 0
s_nop 1                                            // v_accvgpr read vgpr after write vgpr: 2 wait states
ds_bpermute_b32 v5, v0, v5, offset:12              // permute edge values
ds_bpermute_b32 v6, v0, v6, offset:12              // permute edge values
s_waitcnt 0                                        // wait for swizzle operation
v_accvgpr_write_b32 acc54, v5                      // 
v_accvgpr_write_b32 acc118, v6                     // 
v_accvgpr_read_b32 v5, acc135                      // glvw 2 mb 0 tt1 28 r 0
v_accvgpr_read_b32 v6, acc199                      // glvw 2 mb 0 tt1 28 r 0
s_nop 1                                            // v_accvgpr read vgpr after write vgpr: 2 wait states
ds_bpermute_b32 v5, v0, v5, offset:12              // permute edge values
ds_bpermute_b32 v6, v0, v6, offset:12              // permute edge values
s_waitcnt 0                                        // wait for swizzle operation
v_accvgpr_write_b32 acc7, v5                       // 
v_accvgpr_write_b32 acc71, v6                      // 
v_accvgpr_read_b32 v5, acc151                      // glvw 2 mb 0 tt1 29 r 0
v_accvgpr_read_b32 v6, acc215                      // glvw 2 mb 0 tt1 29 r 0
s_nop 1                                            // v_accvgpr read vgpr after write vgpr: 2 wait states
ds_bpermute_b32 v5, v0, v5, offset:12              // permute edge values
ds_bpermute_b32 v6, v0, v6, offset:12              // permute edge values
s_waitcnt 0                                        // wait for swizzle operation
v_accvgpr_write_b32 acc23, v5                      // 
v_accvgpr_write_b32 acc87, v6                      // 
v_accvgpr_read_b32 v5, acc167                      // glvw 2 mb 0 tt1 30 r 0
v_accvgpr_read_b32 v6, acc231                      // glvw 2 mb 0 tt1 30 r 0
s_nop 1                                            // v_accvgpr read vgpr after write vgpr: 2 wait states
ds_bpermute_b32 v5, v0, v5, offset:12              // permute edge values
ds_bpermute_b32 v6, v0, v6, offset:12              // permute edge values
s_waitcnt 0                                        // wait for swizzle operation
v_accvgpr_write_b32 acc39, v5                      // 
v_accvgpr_write_b32 acc103, v6                     // 
v_accvgpr_read_b32 v5, acc183                      // glvw 2 mb 0 tt1 31 r 0
v_accvgpr_read_b32 v6, acc247                      // glvw 2 mb 0 tt1 31 r 0
s_nop 1                                            // v_accvgpr read vgpr after write vgpr: 2 wait states
ds_bpermute_b32 v5, v0, v5, offset:12              // permute edge values
ds_bpermute_b32 v6, v0, v6, offset:12              // permute edge values
s_waitcnt 0                                        // wait for swizzle operation
v_accvgpr_write_b32 acc55, v5                      // 
v_accvgpr_write_b32 acc119, v6                     // 
v_accvgpr_read_b32 v5, acc136                      // glvw 2 mb 0 tt1 32 r 0
v_accvgpr_read_b32 v6, acc200                      // glvw 2 mb 0 tt1 32 r 0
s_nop 1                                            // v_accvgpr read vgpr after write vgpr: 2 wait states
ds_bpermute_b32 v5, v0, v5, offset:12              // permute edge values
ds_bpermute_b32 v6, v0, v6, offset:12              // permute edge values
s_waitcnt 0                                        // wait for swizzle operation
v_accvgpr_write_b32 acc8, v5                       // 
v_accvgpr_write_b32 acc72, v6                      // 
v_accvgpr_read_b32 v5, acc152                      // glvw 2 mb 0 tt1 33 r 0
v_accvgpr_read_b32 v6, acc216                      // glvw 2 mb 0 tt1 33 r 0
s_nop 1                                            // v_accvgpr read vgpr after write vgpr: 2 wait states
ds_bpermute_b32 v5, v0, v5, offset:12              // permute edge values
ds_bpermute_b32 v6, v0, v6, offset:12              // permute edge values
s_waitcnt 0                                        // wait for swizzle operation
v_accvgpr_write_b32 acc24, v5                      // 
v_accvgpr_write_b32 acc88, v6                      // 
v_accvgpr_read_b32 v5, acc168                      // glvw 2 mb 0 tt1 34 r 0
v_accvgpr_read_b32 v6, acc232                      // glvw 2 mb 0 tt1 34 r 0
s_nop 1                                            // v_accvgpr read vgpr after write vgpr: 2 wait states
ds_bpermute_b32 v5, v0, v5, offset:12              // permute edge values
ds_bpermute_b32 v6, v0, v6, offset:12              // permute edge values
s_waitcnt 0                                        // wait for swizzle operation
v_accvgpr_write_b32 acc40, v5                      // 
v_accvgpr_write_b32 acc104, v6                     // 
v_accvgpr_read_b32 v5, acc184                      // glvw 2 mb 0 tt1 35 r 0
v_accvgpr_read_b32 v6, acc248                      // glvw 2 mb 0 tt1 35 r 0
s_nop 1                                            // v_accvgpr read vgpr after write vgpr: 2 wait states
ds_bpermute_b32 v5, v0, v5, offset:12              // permute edge values
ds_bpermute_b32 v6, v0, v6, offset:12              // permute edge values
s_waitcnt 0                                        // wait for swizzle operation
v_accvgpr_write_b32 acc56, v5                      // 
v_accvgpr_write_b32 acc120, v6                     // 
v_accvgpr_read_b32 v5, acc137                      // glvw 2 mb 0 tt1 36 r 0
v_accvgpr_read_b32 v6, acc201                      // glvw 2 mb 0 tt1 36 r 0
s_nop 1                                            // v_accvgpr read vgpr after write vgpr: 2 wait states
ds_bpermute_b32 v5, v0, v5, offset:12              // permute edge values
ds_bpermute_b32 v6, v0, v6, offset:12              // permute edge values
s_waitcnt 0                                        // wait for swizzle operation
v_accvgpr_write_b32 acc9, v5                       // 
v_accvgpr_write_b32 acc73, v6                      // 
v_accvgpr_read_b32 v5, acc153                      // glvw 2 mb 0 tt1 37 r 0
v_accvgpr_read_b32 v6, acc217                      // glvw 2 mb 0 tt1 37 r 0
s_nop 1                                            // v_accvgpr read vgpr after write vgpr: 2 wait states
ds_bpermute_b32 v5, v0, v5, offset:12              // permute edge values
ds_bpermute_b32 v6, v0, v6, offset:12              // permute edge values
s_waitcnt 0                                        // wait for swizzle operation
v_accvgpr_write_b32 acc25, v5                      // 
v_accvgpr_write_b32 acc89, v6                      // 
v_accvgpr_read_b32 v5, acc169                      // glvw 2 mb 0 tt1 38 r 0
v_accvgpr_read_b32 v6, acc233                      // glvw 2 mb 0 tt1 38 r 0
s_nop 1                                            // v_accvgpr read vgpr after write vgpr: 2 wait states
ds_bpermute_b32 v5, v0, v5, offset:12              // permute edge values
ds_bpermute_b32 v6, v0, v6, offset:12              // permute edge values
s_waitcnt 0                                        // wait for swizzle operation
v_accvgpr_write_b32 acc41, v5                      // 
v_accvgpr_write_b32 acc105, v6                     // 
v_accvgpr_read_b32 v5, acc185                      // glvw 2 mb 0 tt1 39 r 0
v_accvgpr_read_b32 v6, acc249                      // glvw 2 mb 0 tt1 39 r 0
s_nop 1                                            // v_accvgpr read vgpr after write vgpr: 2 wait states
ds_bpermute_b32 v5, v0, v5, offset:12              // permute edge values
ds_bpermute_b32 v6, v0, v6, offset:12              // permute edge values
s_waitcnt 0                                        // wait for swizzle operation
v_accvgpr_write_b32 acc57, v5                      // 
v_accvgpr_write_b32 acc121, v6                     // 
v_accvgpr_read_b32 v5, acc138                      // glvw 2 mb 0 tt1 40 r 0
v_accvgpr_read_b32 v6, acc202                      // glvw 2 mb 0 tt1 40 r 0
s_nop 1                                            // v_accvgpr read vgpr after write vgpr: 2 wait states
ds_bpermute_b32 v5, v0, v5, offset:12              // permute edge values
ds_bpermute_b32 v6, v0, v6, offset:12              // permute edge values
s_waitcnt 0                                        // wait for swizzle operation
v_accvgpr_write_b32 acc10, v5                      // 
v_accvgpr_write_b32 acc74, v6                      // 
v_accvgpr_read_b32 v5, acc154                      // glvw 2 mb 0 tt1 41 r 0
v_accvgpr_read_b32 v6, acc218                      // glvw 2 mb 0 tt1 41 r 0
s_nop 1                                            // v_accvgpr read vgpr after write vgpr: 2 wait states
ds_bpermute_b32 v5, v0, v5, offset:12              // permute edge values
ds_bpermute_b32 v6, v0, v6, offset:12              // permute edge values
s_waitcnt 0                                        // wait for swizzle operation
v_accvgpr_write_b32 acc26, v5                      // 
v_accvgpr_write_b32 acc90, v6                      // 
v_accvgpr_read_b32 v5, acc170                      // glvw 2 mb 0 tt1 42 r 0
v_accvgpr_read_b32 v6, acc234                      // glvw 2 mb 0 tt1 42 r 0
s_nop 1                                            // v_accvgpr read vgpr after write vgpr: 2 wait states
ds_bpermute_b32 v5, v0, v5, offset:12              // permute edge values
ds_bpermute_b32 v6, v0, v6, offset:12              // permute edge values
s_waitcnt 0                                        // wait for swizzle operation
v_accvgpr_write_b32 acc42, v5                      // 
v_accvgpr_write_b32 acc106, v6                     // 
v_accvgpr_read_b32 v5, acc186                      // glvw 2 mb 0 tt1 43 r 0
v_accvgpr_read_b32 v6, acc250                      // glvw 2 mb 0 tt1 43 r 0
s_nop 1                                            // v_accvgpr read vgpr after write vgpr: 2 wait states
ds_bpermute_b32 v5, v0, v5, offset:12              // permute edge values
ds_bpermute_b32 v6, v0, v6, offset:12              // permute edge values
s_waitcnt 0                                        // wait for swizzle operation
v_accvgpr_write_b32 acc58, v5                      // 
v_accvgpr_write_b32 acc122, v6                     // 
v_accvgpr_read_b32 v5, acc139                      // glvw 2 mb 0 tt1 44 r 0
v_accvgpr_read_b32 v6, acc203                      // glvw 2 mb 0 tt1 44 r 0
s_nop 1                                            // v_accvgpr read vgpr after write vgpr: 2 wait states
ds_bpermute_b32 v5, v0, v5, offset:12              // permute edge values
ds_bpermute_b32 v6, v0, v6, offset:12              // permute edge values
s_waitcnt 0                                        // wait for swizzle operation
v_accvgpr_write_b32 acc11, v5                      // 
v_accvgpr_write_b32 acc75, v6                      // 
v_accvgpr_read_b32 v5, acc155                      // glvw 2 mb 0 tt1 45 r 0
v_accvgpr_read_b32 v6, acc219                      // glvw 2 mb 0 tt1 45 r 0
s_nop 1                                            // v_accvgpr read vgpr after write vgpr: 2 wait states
ds_bpermute_b32 v5, v0, v5, offset:12              // permute edge values
ds_bpermute_b32 v6, v0, v6, offset:12              // permute edge values
s_waitcnt 0                                        // wait for swizzle operation
v_accvgpr_write_b32 acc27, v5                      // 
v_accvgpr_write_b32 acc91, v6                      // 
v_accvgpr_read_b32 v5, acc171                      // glvw 2 mb 0 tt1 46 r 0
v_accvgpr_read_b32 v6, acc235                      // glvw 2 mb 0 tt1 46 r 0
s_nop 1                                            // v_accvgpr read vgpr after write vgpr: 2 wait states
ds_bpermute_b32 v5, v0, v5, offset:12              // permute edge values
ds_bpermute_b32 v6, v0, v6, offset:12              // permute edge values
s_waitcnt 0                                        // wait for swizzle operation
v_accvgpr_write_b32 acc43, v5                      // 
v_accvgpr_write_b32 acc107, v6                     // 
v_accvgpr_read_b32 v5, acc187                      // glvw 2 mb 0 tt1 47 r 0
v_accvgpr_read_b32 v6, acc251                      // glvw 2 mb 0 tt1 47 r 0
s_nop 1                                            // v_accvgpr read vgpr after write vgpr: 2 wait states
ds_bpermute_b32 v5, v0, v5, offset:12              // permute edge values
ds_bpermute_b32 v6, v0, v6, offset:12              // permute edge values
s_waitcnt 0                                        // wait for swizzle operation
v_accvgpr_write_b32 acc59, v5                      // 
v_accvgpr_write_b32 acc123, v6                     // 
v_accvgpr_read_b32 v5, acc140                      // glvw 2 mb 0 tt1 48 r 0
v_accvgpr_read_b32 v6, acc204                      // glvw 2 mb 0 tt1 48 r 0
s_nop 1                                            // v_accvgpr read vgpr after write vgpr: 2 wait states
ds_bpermute_b32 v5, v0, v5, offset:12              // permute edge values
ds_bpermute_b32 v6, v0, v6, offset:12              // permute edge values
s_waitcnt 0                                        // wait for swizzle operation
v_accvgpr_write_b32 acc12, v5                      // 
v_accvgpr_write_b32 acc76, v6                      // 
v_accvgpr_read_b32 v5, acc156                      // glvw 2 mb 0 tt1 49 r 0
v_accvgpr_read_b32 v6, acc220                      // glvw 2 mb 0 tt1 49 r 0
s_nop 1                                            // v_accvgpr read vgpr after write vgpr: 2 wait states
ds_bpermute_b32 v5, v0, v5, offset:12              // permute edge values
ds_bpermute_b32 v6, v0, v6, offset:12              // permute edge values
s_waitcnt 0                                        // wait for swizzle operation
v_accvgpr_write_b32 acc28, v5                      // 
v_accvgpr_write_b32 acc92, v6                      // 
v_accvgpr_read_b32 v5, acc172                      // glvw 2 mb 0 tt1 50 r 0
v_accvgpr_read_b32 v6, acc236                      // glvw 2 mb 0 tt1 50 r 0
s_nop 1                                            // v_accvgpr read vgpr after write vgpr: 2 wait states
ds_bpermute_b32 v5, v0, v5, offset:12              // permute edge values
ds_bpermute_b32 v6, v0, v6, offset:12              // permute edge values
s_waitcnt 0                                        // wait for swizzle operation
v_accvgpr_write_b32 acc44, v5                      // 
v_accvgpr_write_b32 acc108, v6                     // 
v_accvgpr_read_b32 v5, acc188                      // glvw 2 mb 0 tt1 51 r 0
v_accvgpr_read_b32 v6, acc252                      // glvw 2 mb 0 tt1 51 r 0
s_nop 1                                            // v_accvgpr read vgpr after write vgpr: 2 wait states
ds_bpermute_b32 v5, v0, v5, offset:12              // permute edge values
ds_bpermute_b32 v6, v0, v6, offset:12              // permute edge values
s_waitcnt 0                                        // wait for swizzle operation
v_accvgpr_write_b32 acc60, v5                      // 
v_accvgpr_write_b32 acc124, v6                     // 
v_accvgpr_read_b32 v5, acc141                      // glvw 2 mb 0 tt1 52 r 0
v_accvgpr_read_b32 v6, acc205                      // glvw 2 mb 0 tt1 52 r 0
s_nop 1                                            // v_accvgpr read vgpr after write vgpr: 2 wait states
ds_bpermute_b32 v5, v0, v5, offset:12              // permute edge values
ds_bpermute_b32 v6, v0, v6, offset:12              // permute edge values
s_waitcnt 0                                        // wait for swizzle operation
v_accvgpr_write_b32 acc13, v5                      // 
v_accvgpr_write_b32 acc77, v6                      // 
v_accvgpr_read_b32 v5, acc157                      // glvw 2 mb 0 tt1 53 r 0
v_accvgpr_read_b32 v6, acc221                      // glvw 2 mb 0 tt1 53 r 0
s_nop 1                                            // v_accvgpr read vgpr after write vgpr: 2 wait states
ds_bpermute_b32 v5, v0, v5, offset:12              // permute edge values
ds_bpermute_b32 v6, v0, v6, offset:12              // permute edge values
s_waitcnt 0                                        // wait for swizzle operation
v_accvgpr_write_b32 acc29, v5                      // 
v_accvgpr_write_b32 acc93, v6                      // 
v_accvgpr_read_b32 v5, acc173                      // glvw 2 mb 0 tt1 54 r 0
v_accvgpr_read_b32 v6, acc237                      // glvw 2 mb 0 tt1 54 r 0
s_nop 1                                            // v_accvgpr read vgpr after write vgpr: 2 wait states
ds_bpermute_b32 v5, v0, v5, offset:12              // permute edge values
ds_bpermute_b32 v6, v0, v6, offset:12              // permute edge values
s_waitcnt 0                                        // wait for swizzle operation
v_accvgpr_write_b32 acc45, v5                      // 
v_accvgpr_write_b32 acc109, v6                     // 
v_accvgpr_read_b32 v5, acc189                      // glvw 2 mb 0 tt1 55 r 0
v_accvgpr_read_b32 v6, acc253                      // glvw 2 mb 0 tt1 55 r 0
s_nop 1                                            // v_accvgpr read vgpr after write vgpr: 2 wait states
ds_bpermute_b32 v5, v0, v5, offset:12              // permute edge values
ds_bpermute_b32 v6, v0, v6, offset:12              // permute edge values
s_waitcnt 0                                        // wait for swizzle operation
v_accvgpr_write_b32 acc61, v5                      // 
v_accvgpr_write_b32 acc125, v6                     // 
v_accvgpr_read_b32 v5, acc142                      // glvw 2 mb 0 tt1 56 r 0
v_accvgpr_read_b32 v6, acc206                      // glvw 2 mb 0 tt1 56 r 0
s_nop 1                                            // v_accvgpr read vgpr after write vgpr: 2 wait states
ds_bpermute_b32 v5, v0, v5, offset:12              // permute edge values
ds_bpermute_b32 v6, v0, v6, offset:12              // permute edge values
s_waitcnt 0                                        // wait for swizzle operation
v_accvgpr_write_b32 acc14, v5                      // 
v_accvgpr_write_b32 acc78, v6                      // 
v_accvgpr_read_b32 v5, acc158                      // glvw 2 mb 0 tt1 57 r 0
v_accvgpr_read_b32 v6, acc222                      // glvw 2 mb 0 tt1 57 r 0
s_nop 1                                            // v_accvgpr read vgpr after write vgpr: 2 wait states
ds_bpermute_b32 v5, v0, v5, offset:12              // permute edge values
ds_bpermute_b32 v6, v0, v6, offset:12              // permute edge values
s_waitcnt 0                                        // wait for swizzle operation
v_accvgpr_write_b32 acc30, v5                      // 
v_accvgpr_write_b32 acc94, v6                      // 
v_accvgpr_read_b32 v5, acc174                      // glvw 2 mb 0 tt1 58 r 0
v_accvgpr_read_b32 v6, acc238                      // glvw 2 mb 0 tt1 58 r 0
s_nop 1                                            // v_accvgpr read vgpr after write vgpr: 2 wait states
ds_bpermute_b32 v5, v0, v5, offset:12              // permute edge values
ds_bpermute_b32 v6, v0, v6, offset:12              // permute edge values
s_waitcnt 0                                        // wait for swizzle operation
v_accvgpr_write_b32 acc46, v5                      // 
v_accvgpr_write_b32 acc110, v6                     // 
v_accvgpr_read_b32 v5, acc190                      // glvw 2 mb 0 tt1 59 r 0
v_accvgpr_read_b32 v6, acc254                      // glvw 2 mb 0 tt1 59 r 0
s_nop 1                                            // v_accvgpr read vgpr after write vgpr: 2 wait states
ds_bpermute_b32 v5, v0, v5, offset:12              // permute edge values
ds_bpermute_b32 v6, v0, v6, offset:12              // permute edge values
s_waitcnt 0                                        // wait for swizzle operation
v_accvgpr_write_b32 acc62, v5                      // 
v_accvgpr_write_b32 acc126, v6                     // 
v_accvgpr_read_b32 v5, acc143                      // glvw 2 mb 0 tt1 60 r 0
v_accvgpr_read_b32 v6, acc207                      // glvw 2 mb 0 tt1 60 r 0
s_nop 1                                            // v_accvgpr read vgpr after write vgpr: 2 wait states
ds_bpermute_b32 v5, v0, v5, offset:12              // permute edge values
ds_bpermute_b32 v6, v0, v6, offset:12              // permute edge values
s_waitcnt 0                                        // wait for swizzle operation
v_accvgpr_write_b32 acc15, v5                      // 
v_accvgpr_write_b32 acc79, v6                      // 
v_accvgpr_read_b32 v5, acc159                      // glvw 2 mb 0 tt1 61 r 0
v_accvgpr_read_b32 v6, acc223                      // glvw 2 mb 0 tt1 61 r 0
s_nop 1                                            // v_accvgpr read vgpr after write vgpr: 2 wait states
ds_bpermute_b32 v5, v0, v5, offset:12              // permute edge values
ds_bpermute_b32 v6, v0, v6, offset:12              // permute edge values
s_waitcnt 0                                        // wait for swizzle operation
v_accvgpr_write_b32 acc31, v5                      // 
v_accvgpr_write_b32 acc95, v6                      // 
v_accvgpr_read_b32 v5, acc175                      // glvw 2 mb 0 tt1 62 r 0
v_accvgpr_read_b32 v6, acc239                      // glvw 2 mb 0 tt1 62 r 0
s_nop 1                                            // v_accvgpr read vgpr after write vgpr: 2 wait states
ds_bpermute_b32 v5, v0, v5, offset:12              // permute edge values
ds_bpermute_b32 v6, v0, v6, offset:12              // permute edge values
s_waitcnt 0                                        // wait for swizzle operation
v_accvgpr_write_b32 acc47, v5                      // 
v_accvgpr_write_b32 acc111, v6                     // 
v_accvgpr_read_b32 v5, acc191                      // glvw 2 mb 0 tt1 63 r 0
v_accvgpr_read_b32 v6, acc255                      // glvw 2 mb 0 tt1 63 r 0
s_nop 1                                            // v_accvgpr read vgpr after write vgpr: 2 wait states
ds_bpermute_b32 v5, v0, v5, offset:12              // permute edge values
ds_bpermute_b32 v6, v0, v6, offset:12              // permute edge values
s_waitcnt 0                                        // wait for swizzle operation
v_accvgpr_write_b32 acc63, v5                      // 
v_accvgpr_write_b32 acc127, v6                     // 
s_mov_b64 s[42:43], 0xFFFFFFFFFFFFFFFF             // to restore all threads active
s_or_saveexec_b64 vcc, s[42:43]                    // all threads active
s_branch label_0222                                // done shifting


/******************************************/
/* shift d1 r=3 mb=0 vw0                  */
/******************************************/
label_0185: // r3 mb0 vw0 
s_mov_b32 s42, 0                                   // 
_v_cmpx_eq_u32 s[42:43], v4, s42                   // is thread in edge glvw region
v_and_b32 v0, 63, v[vgprSerial]                    // permute register between threads
v_lshlrev_b32 v0, 2, v0                            // permute register between threads
v_accvgpr_read_b32 v5, acc64                       // glvw 3 mb 0 tt1 0 r 0
v_accvgpr_read_b32 v6, acc128                      // glvw 3 mb 0 tt1 0 r 0
v_accvgpr_read_b32 v7, acc192                      // glvw 3 mb 0 tt1 0 r 0
s_nop 1                                            // v_accvgpr read vgpr after write vgpr: 2 wait states
ds_bpermute_b32 v5, v0, v5, offset:12              // permute edge values
ds_bpermute_b32 v6, v0, v6, offset:12              // permute edge values
	;; [unrolled: 1-line block ×3, first 2 shown]
s_waitcnt 0                                        // wait for swizzle operation
v_accvgpr_write_b32 acc0, v5                       // 
v_accvgpr_write_b32 acc64, v6                      // 
v_accvgpr_write_b32 acc128, v7                     // 
v_accvgpr_read_b32 v5, acc80                       // glvw 3 mb 0 tt1 1 r 0
v_accvgpr_read_b32 v6, acc144                      // glvw 3 mb 0 tt1 1 r 0
v_accvgpr_read_b32 v7, acc208                      // glvw 3 mb 0 tt1 1 r 0
s_nop 1                                            // v_accvgpr read vgpr after write vgpr: 2 wait states
ds_bpermute_b32 v5, v0, v5, offset:12              // permute edge values
ds_bpermute_b32 v6, v0, v6, offset:12              // permute edge values
	;; [unrolled: 1-line block ×3, first 2 shown]
s_waitcnt 0                                        // wait for swizzle operation
v_accvgpr_write_b32 acc16, v5                      // 
v_accvgpr_write_b32 acc80, v6                      // 
v_accvgpr_write_b32 acc144, v7                     // 
v_accvgpr_read_b32 v5, acc96                       // glvw 3 mb 0 tt1 2 r 0
v_accvgpr_read_b32 v6, acc160                      // glvw 3 mb 0 tt1 2 r 0
v_accvgpr_read_b32 v7, acc224                      // glvw 3 mb 0 tt1 2 r 0
s_nop 1                                            // v_accvgpr read vgpr after write vgpr: 2 wait states
ds_bpermute_b32 v5, v0, v5, offset:12              // permute edge values
ds_bpermute_b32 v6, v0, v6, offset:12              // permute edge values
ds_bpermute_b32 v7, v0, v7, offset:12              // permute edge values
s_waitcnt 0                                        // wait for swizzle operation
v_accvgpr_write_b32 acc32, v5                      // 
v_accvgpr_write_b32 acc96, v6                      // 
v_accvgpr_write_b32 acc160, v7                     // 
v_accvgpr_read_b32 v5, acc112                      // glvw 3 mb 0 tt1 3 r 0
v_accvgpr_read_b32 v6, acc176                      // glvw 3 mb 0 tt1 3 r 0
v_accvgpr_read_b32 v7, acc240                      // glvw 3 mb 0 tt1 3 r 0
s_nop 1                                            // v_accvgpr read vgpr after write vgpr: 2 wait states
ds_bpermute_b32 v5, v0, v5, offset:12              // permute edge values
ds_bpermute_b32 v6, v0, v6, offset:12              // permute edge values
	;; [unrolled: 1-line block ×3, first 2 shown]
s_waitcnt 0                                        // wait for swizzle operation
v_accvgpr_write_b32 acc48, v5                      // 
v_accvgpr_write_b32 acc112, v6                     // 
v_accvgpr_write_b32 acc176, v7                     // 
v_accvgpr_read_b32 v5, acc65                       // glvw 3 mb 0 tt1 4 r 0
v_accvgpr_read_b32 v6, acc129                      // glvw 3 mb 0 tt1 4 r 0
v_accvgpr_read_b32 v7, acc193                      // glvw 3 mb 0 tt1 4 r 0
s_nop 1                                            // v_accvgpr read vgpr after write vgpr: 2 wait states
ds_bpermute_b32 v5, v0, v5, offset:12              // permute edge values
ds_bpermute_b32 v6, v0, v6, offset:12              // permute edge values
	;; [unrolled: 1-line block ×3, first 2 shown]
s_waitcnt 0                                        // wait for swizzle operation
v_accvgpr_write_b32 acc1, v5                       // 
v_accvgpr_write_b32 acc65, v6                      // 
v_accvgpr_write_b32 acc129, v7                     // 
v_accvgpr_read_b32 v5, acc81                       // glvw 3 mb 0 tt1 5 r 0
v_accvgpr_read_b32 v6, acc145                      // glvw 3 mb 0 tt1 5 r 0
v_accvgpr_read_b32 v7, acc209                      // glvw 3 mb 0 tt1 5 r 0
s_nop 1                                            // v_accvgpr read vgpr after write vgpr: 2 wait states
ds_bpermute_b32 v5, v0, v5, offset:12              // permute edge values
ds_bpermute_b32 v6, v0, v6, offset:12              // permute edge values
	;; [unrolled: 1-line block ×3, first 2 shown]
s_waitcnt 0                                        // wait for swizzle operation
v_accvgpr_write_b32 acc17, v5                      // 
v_accvgpr_write_b32 acc81, v6                      // 
v_accvgpr_write_b32 acc145, v7                     // 
v_accvgpr_read_b32 v5, acc97                       // glvw 3 mb 0 tt1 6 r 0
v_accvgpr_read_b32 v6, acc161                      // glvw 3 mb 0 tt1 6 r 0
v_accvgpr_read_b32 v7, acc225                      // glvw 3 mb 0 tt1 6 r 0
s_nop 1                                            // v_accvgpr read vgpr after write vgpr: 2 wait states
ds_bpermute_b32 v5, v0, v5, offset:12              // permute edge values
ds_bpermute_b32 v6, v0, v6, offset:12              // permute edge values
	;; [unrolled: 1-line block ×3, first 2 shown]
s_waitcnt 0                                        // wait for swizzle operation
v_accvgpr_write_b32 acc33, v5                      // 
v_accvgpr_write_b32 acc97, v6                      // 
v_accvgpr_write_b32 acc161, v7                     // 
v_accvgpr_read_b32 v5, acc113                      // glvw 3 mb 0 tt1 7 r 0
v_accvgpr_read_b32 v6, acc177                      // glvw 3 mb 0 tt1 7 r 0
v_accvgpr_read_b32 v7, acc241                      // glvw 3 mb 0 tt1 7 r 0
s_nop 1                                            // v_accvgpr read vgpr after write vgpr: 2 wait states
ds_bpermute_b32 v5, v0, v5, offset:12              // permute edge values
ds_bpermute_b32 v6, v0, v6, offset:12              // permute edge values
	;; [unrolled: 1-line block ×3, first 2 shown]
s_waitcnt 0                                        // wait for swizzle operation
v_accvgpr_write_b32 acc49, v5                      // 
v_accvgpr_write_b32 acc113, v6                     // 
v_accvgpr_write_b32 acc177, v7                     // 
v_accvgpr_read_b32 v5, acc66                       // glvw 3 mb 0 tt1 8 r 0
v_accvgpr_read_b32 v6, acc130                      // glvw 3 mb 0 tt1 8 r 0
v_accvgpr_read_b32 v7, acc194                      // glvw 3 mb 0 tt1 8 r 0
s_nop 1                                            // v_accvgpr read vgpr after write vgpr: 2 wait states
ds_bpermute_b32 v5, v0, v5, offset:12              // permute edge values
ds_bpermute_b32 v6, v0, v6, offset:12              // permute edge values
	;; [unrolled: 1-line block ×3, first 2 shown]
s_waitcnt 0                                        // wait for swizzle operation
v_accvgpr_write_b32 acc2, v5                       // 
v_accvgpr_write_b32 acc66, v6                      // 
v_accvgpr_write_b32 acc130, v7                     // 
v_accvgpr_read_b32 v5, acc82                       // glvw 3 mb 0 tt1 9 r 0
v_accvgpr_read_b32 v6, acc146                      // glvw 3 mb 0 tt1 9 r 0
v_accvgpr_read_b32 v7, acc210                      // glvw 3 mb 0 tt1 9 r 0
s_nop 1                                            // v_accvgpr read vgpr after write vgpr: 2 wait states
ds_bpermute_b32 v5, v0, v5, offset:12              // permute edge values
ds_bpermute_b32 v6, v0, v6, offset:12              // permute edge values
	;; [unrolled: 1-line block ×3, first 2 shown]
s_waitcnt 0                                        // wait for swizzle operation
v_accvgpr_write_b32 acc18, v5                      // 
v_accvgpr_write_b32 acc82, v6                      // 
v_accvgpr_write_b32 acc146, v7                     // 
v_accvgpr_read_b32 v5, acc98                       // glvw 3 mb 0 tt1 10 r 0
v_accvgpr_read_b32 v6, acc162                      // glvw 3 mb 0 tt1 10 r 0
v_accvgpr_read_b32 v7, acc226                      // glvw 3 mb 0 tt1 10 r 0
s_nop 1                                            // v_accvgpr read vgpr after write vgpr: 2 wait states
ds_bpermute_b32 v5, v0, v5, offset:12              // permute edge values
ds_bpermute_b32 v6, v0, v6, offset:12              // permute edge values
	;; [unrolled: 1-line block ×3, first 2 shown]
s_waitcnt 0                                        // wait for swizzle operation
v_accvgpr_write_b32 acc34, v5                      // 
v_accvgpr_write_b32 acc98, v6                      // 
v_accvgpr_write_b32 acc162, v7                     // 
v_accvgpr_read_b32 v5, acc114                      // glvw 3 mb 0 tt1 11 r 0
v_accvgpr_read_b32 v6, acc178                      // glvw 3 mb 0 tt1 11 r 0
v_accvgpr_read_b32 v7, acc242                      // glvw 3 mb 0 tt1 11 r 0
s_nop 1                                            // v_accvgpr read vgpr after write vgpr: 2 wait states
ds_bpermute_b32 v5, v0, v5, offset:12              // permute edge values
ds_bpermute_b32 v6, v0, v6, offset:12              // permute edge values
	;; [unrolled: 1-line block ×3, first 2 shown]
s_waitcnt 0                                        // wait for swizzle operation
v_accvgpr_write_b32 acc50, v5                      // 
v_accvgpr_write_b32 acc114, v6                     // 
v_accvgpr_write_b32 acc178, v7                     // 
v_accvgpr_read_b32 v5, acc67                       // glvw 3 mb 0 tt1 12 r 0
v_accvgpr_read_b32 v6, acc131                      // glvw 3 mb 0 tt1 12 r 0
v_accvgpr_read_b32 v7, acc195                      // glvw 3 mb 0 tt1 12 r 0
s_nop 1                                            // v_accvgpr read vgpr after write vgpr: 2 wait states
ds_bpermute_b32 v5, v0, v5, offset:12              // permute edge values
ds_bpermute_b32 v6, v0, v6, offset:12              // permute edge values
	;; [unrolled: 1-line block ×3, first 2 shown]
s_waitcnt 0                                        // wait for swizzle operation
v_accvgpr_write_b32 acc3, v5                       // 
v_accvgpr_write_b32 acc67, v6                      // 
v_accvgpr_write_b32 acc131, v7                     // 
v_accvgpr_read_b32 v5, acc83                       // glvw 3 mb 0 tt1 13 r 0
v_accvgpr_read_b32 v6, acc147                      // glvw 3 mb 0 tt1 13 r 0
v_accvgpr_read_b32 v7, acc211                      // glvw 3 mb 0 tt1 13 r 0
s_nop 1                                            // v_accvgpr read vgpr after write vgpr: 2 wait states
ds_bpermute_b32 v5, v0, v5, offset:12              // permute edge values
ds_bpermute_b32 v6, v0, v6, offset:12              // permute edge values
	;; [unrolled: 1-line block ×3, first 2 shown]
s_waitcnt 0                                        // wait for swizzle operation
v_accvgpr_write_b32 acc19, v5                      // 
v_accvgpr_write_b32 acc83, v6                      // 
v_accvgpr_write_b32 acc147, v7                     // 
v_accvgpr_read_b32 v5, acc99                       // glvw 3 mb 0 tt1 14 r 0
v_accvgpr_read_b32 v6, acc163                      // glvw 3 mb 0 tt1 14 r 0
v_accvgpr_read_b32 v7, acc227                      // glvw 3 mb 0 tt1 14 r 0
s_nop 1                                            // v_accvgpr read vgpr after write vgpr: 2 wait states
ds_bpermute_b32 v5, v0, v5, offset:12              // permute edge values
ds_bpermute_b32 v6, v0, v6, offset:12              // permute edge values
	;; [unrolled: 1-line block ×3, first 2 shown]
s_waitcnt 0                                        // wait for swizzle operation
v_accvgpr_write_b32 acc35, v5                      // 
v_accvgpr_write_b32 acc99, v6                      // 
v_accvgpr_write_b32 acc163, v7                     // 
v_accvgpr_read_b32 v5, acc115                      // glvw 3 mb 0 tt1 15 r 0
v_accvgpr_read_b32 v6, acc179                      // glvw 3 mb 0 tt1 15 r 0
v_accvgpr_read_b32 v7, acc243                      // glvw 3 mb 0 tt1 15 r 0
s_nop 1                                            // v_accvgpr read vgpr after write vgpr: 2 wait states
ds_bpermute_b32 v5, v0, v5, offset:12              // permute edge values
ds_bpermute_b32 v6, v0, v6, offset:12              // permute edge values
	;; [unrolled: 1-line block ×3, first 2 shown]
s_waitcnt 0                                        // wait for swizzle operation
v_accvgpr_write_b32 acc51, v5                      // 
v_accvgpr_write_b32 acc115, v6                     // 
v_accvgpr_write_b32 acc179, v7                     // 
v_accvgpr_read_b32 v5, acc68                       // glvw 3 mb 0 tt1 16 r 0
v_accvgpr_read_b32 v6, acc132                      // glvw 3 mb 0 tt1 16 r 0
v_accvgpr_read_b32 v7, acc196                      // glvw 3 mb 0 tt1 16 r 0
s_nop 1                                            // v_accvgpr read vgpr after write vgpr: 2 wait states
ds_bpermute_b32 v5, v0, v5, offset:12              // permute edge values
ds_bpermute_b32 v6, v0, v6, offset:12              // permute edge values
	;; [unrolled: 1-line block ×3, first 2 shown]
s_waitcnt 0                                        // wait for swizzle operation
v_accvgpr_write_b32 acc4, v5                       // 
v_accvgpr_write_b32 acc68, v6                      // 
v_accvgpr_write_b32 acc132, v7                     // 
v_accvgpr_read_b32 v5, acc84                       // glvw 3 mb 0 tt1 17 r 0
v_accvgpr_read_b32 v6, acc148                      // glvw 3 mb 0 tt1 17 r 0
v_accvgpr_read_b32 v7, acc212                      // glvw 3 mb 0 tt1 17 r 0
s_nop 1                                            // v_accvgpr read vgpr after write vgpr: 2 wait states
ds_bpermute_b32 v5, v0, v5, offset:12              // permute edge values
ds_bpermute_b32 v6, v0, v6, offset:12              // permute edge values
	;; [unrolled: 1-line block ×3, first 2 shown]
s_waitcnt 0                                        // wait for swizzle operation
v_accvgpr_write_b32 acc20, v5                      // 
v_accvgpr_write_b32 acc84, v6                      // 
v_accvgpr_write_b32 acc148, v7                     // 
v_accvgpr_read_b32 v5, acc100                      // glvw 3 mb 0 tt1 18 r 0
v_accvgpr_read_b32 v6, acc164                      // glvw 3 mb 0 tt1 18 r 0
v_accvgpr_read_b32 v7, acc228                      // glvw 3 mb 0 tt1 18 r 0
s_nop 1                                            // v_accvgpr read vgpr after write vgpr: 2 wait states
ds_bpermute_b32 v5, v0, v5, offset:12              // permute edge values
ds_bpermute_b32 v6, v0, v6, offset:12              // permute edge values
	;; [unrolled: 1-line block ×3, first 2 shown]
s_waitcnt 0                                        // wait for swizzle operation
v_accvgpr_write_b32 acc36, v5                      // 
v_accvgpr_write_b32 acc100, v6                     // 
v_accvgpr_write_b32 acc164, v7                     // 
v_accvgpr_read_b32 v5, acc116                      // glvw 3 mb 0 tt1 19 r 0
v_accvgpr_read_b32 v6, acc180                      // glvw 3 mb 0 tt1 19 r 0
v_accvgpr_read_b32 v7, acc244                      // glvw 3 mb 0 tt1 19 r 0
s_nop 1                                            // v_accvgpr read vgpr after write vgpr: 2 wait states
ds_bpermute_b32 v5, v0, v5, offset:12              // permute edge values
ds_bpermute_b32 v6, v0, v6, offset:12              // permute edge values
	;; [unrolled: 1-line block ×3, first 2 shown]
s_waitcnt 0                                        // wait for swizzle operation
v_accvgpr_write_b32 acc52, v5                      // 
v_accvgpr_write_b32 acc116, v6                     // 
v_accvgpr_write_b32 acc180, v7                     // 
v_accvgpr_read_b32 v5, acc69                       // glvw 3 mb 0 tt1 20 r 0
v_accvgpr_read_b32 v6, acc133                      // glvw 3 mb 0 tt1 20 r 0
v_accvgpr_read_b32 v7, acc197                      // glvw 3 mb 0 tt1 20 r 0
s_nop 1                                            // v_accvgpr read vgpr after write vgpr: 2 wait states
ds_bpermute_b32 v5, v0, v5, offset:12              // permute edge values
ds_bpermute_b32 v6, v0, v6, offset:12              // permute edge values
	;; [unrolled: 1-line block ×3, first 2 shown]
s_waitcnt 0                                        // wait for swizzle operation
v_accvgpr_write_b32 acc5, v5                       // 
v_accvgpr_write_b32 acc69, v6                      // 
v_accvgpr_write_b32 acc133, v7                     // 
v_accvgpr_read_b32 v5, acc85                       // glvw 3 mb 0 tt1 21 r 0
v_accvgpr_read_b32 v6, acc149                      // glvw 3 mb 0 tt1 21 r 0
v_accvgpr_read_b32 v7, acc213                      // glvw 3 mb 0 tt1 21 r 0
s_nop 1                                            // v_accvgpr read vgpr after write vgpr: 2 wait states
ds_bpermute_b32 v5, v0, v5, offset:12              // permute edge values
ds_bpermute_b32 v6, v0, v6, offset:12              // permute edge values
	;; [unrolled: 1-line block ×3, first 2 shown]
s_waitcnt 0                                        // wait for swizzle operation
v_accvgpr_write_b32 acc21, v5                      // 
v_accvgpr_write_b32 acc85, v6                      // 
v_accvgpr_write_b32 acc149, v7                     // 
v_accvgpr_read_b32 v5, acc101                      // glvw 3 mb 0 tt1 22 r 0
v_accvgpr_read_b32 v6, acc165                      // glvw 3 mb 0 tt1 22 r 0
v_accvgpr_read_b32 v7, acc229                      // glvw 3 mb 0 tt1 22 r 0
s_nop 1                                            // v_accvgpr read vgpr after write vgpr: 2 wait states
ds_bpermute_b32 v5, v0, v5, offset:12              // permute edge values
ds_bpermute_b32 v6, v0, v6, offset:12              // permute edge values
	;; [unrolled: 1-line block ×3, first 2 shown]
s_waitcnt 0                                        // wait for swizzle operation
v_accvgpr_write_b32 acc37, v5                      // 
v_accvgpr_write_b32 acc101, v6                     // 
v_accvgpr_write_b32 acc165, v7                     // 
v_accvgpr_read_b32 v5, acc117                      // glvw 3 mb 0 tt1 23 r 0
v_accvgpr_read_b32 v6, acc181                      // glvw 3 mb 0 tt1 23 r 0
v_accvgpr_read_b32 v7, acc245                      // glvw 3 mb 0 tt1 23 r 0
s_nop 1                                            // v_accvgpr read vgpr after write vgpr: 2 wait states
ds_bpermute_b32 v5, v0, v5, offset:12              // permute edge values
ds_bpermute_b32 v6, v0, v6, offset:12              // permute edge values
	;; [unrolled: 1-line block ×3, first 2 shown]
s_waitcnt 0                                        // wait for swizzle operation
v_accvgpr_write_b32 acc53, v5                      // 
v_accvgpr_write_b32 acc117, v6                     // 
v_accvgpr_write_b32 acc181, v7                     // 
v_accvgpr_read_b32 v5, acc70                       // glvw 3 mb 0 tt1 24 r 0
v_accvgpr_read_b32 v6, acc134                      // glvw 3 mb 0 tt1 24 r 0
v_accvgpr_read_b32 v7, acc198                      // glvw 3 mb 0 tt1 24 r 0
s_nop 1                                            // v_accvgpr read vgpr after write vgpr: 2 wait states
ds_bpermute_b32 v5, v0, v5, offset:12              // permute edge values
ds_bpermute_b32 v6, v0, v6, offset:12              // permute edge values
	;; [unrolled: 1-line block ×3, first 2 shown]
s_waitcnt 0                                        // wait for swizzle operation
v_accvgpr_write_b32 acc6, v5                       // 
v_accvgpr_write_b32 acc70, v6                      // 
v_accvgpr_write_b32 acc134, v7                     // 
v_accvgpr_read_b32 v5, acc86                       // glvw 3 mb 0 tt1 25 r 0
v_accvgpr_read_b32 v6, acc150                      // glvw 3 mb 0 tt1 25 r 0
v_accvgpr_read_b32 v7, acc214                      // glvw 3 mb 0 tt1 25 r 0
s_nop 1                                            // v_accvgpr read vgpr after write vgpr: 2 wait states
ds_bpermute_b32 v5, v0, v5, offset:12              // permute edge values
ds_bpermute_b32 v6, v0, v6, offset:12              // permute edge values
	;; [unrolled: 1-line block ×3, first 2 shown]
s_waitcnt 0                                        // wait for swizzle operation
v_accvgpr_write_b32 acc22, v5                      // 
v_accvgpr_write_b32 acc86, v6                      // 
v_accvgpr_write_b32 acc150, v7                     // 
v_accvgpr_read_b32 v5, acc102                      // glvw 3 mb 0 tt1 26 r 0
v_accvgpr_read_b32 v6, acc166                      // glvw 3 mb 0 tt1 26 r 0
v_accvgpr_read_b32 v7, acc230                      // glvw 3 mb 0 tt1 26 r 0
s_nop 1                                            // v_accvgpr read vgpr after write vgpr: 2 wait states
ds_bpermute_b32 v5, v0, v5, offset:12              // permute edge values
ds_bpermute_b32 v6, v0, v6, offset:12              // permute edge values
	;; [unrolled: 1-line block ×3, first 2 shown]
s_waitcnt 0                                        // wait for swizzle operation
v_accvgpr_write_b32 acc38, v5                      // 
v_accvgpr_write_b32 acc102, v6                     // 
v_accvgpr_write_b32 acc166, v7                     // 
v_accvgpr_read_b32 v5, acc118                      // glvw 3 mb 0 tt1 27 r 0
v_accvgpr_read_b32 v6, acc182                      // glvw 3 mb 0 tt1 27 r 0
v_accvgpr_read_b32 v7, acc246                      // glvw 3 mb 0 tt1 27 r 0
s_nop 1                                            // v_accvgpr read vgpr after write vgpr: 2 wait states
ds_bpermute_b32 v5, v0, v5, offset:12              // permute edge values
ds_bpermute_b32 v6, v0, v6, offset:12              // permute edge values
	;; [unrolled: 1-line block ×3, first 2 shown]
s_waitcnt 0                                        // wait for swizzle operation
v_accvgpr_write_b32 acc54, v5                      // 
v_accvgpr_write_b32 acc118, v6                     // 
v_accvgpr_write_b32 acc182, v7                     // 
v_accvgpr_read_b32 v5, acc71                       // glvw 3 mb 0 tt1 28 r 0
v_accvgpr_read_b32 v6, acc135                      // glvw 3 mb 0 tt1 28 r 0
v_accvgpr_read_b32 v7, acc199                      // glvw 3 mb 0 tt1 28 r 0
s_nop 1                                            // v_accvgpr read vgpr after write vgpr: 2 wait states
ds_bpermute_b32 v5, v0, v5, offset:12              // permute edge values
ds_bpermute_b32 v6, v0, v6, offset:12              // permute edge values
	;; [unrolled: 1-line block ×3, first 2 shown]
s_waitcnt 0                                        // wait for swizzle operation
v_accvgpr_write_b32 acc7, v5                       // 
v_accvgpr_write_b32 acc71, v6                      // 
v_accvgpr_write_b32 acc135, v7                     // 
v_accvgpr_read_b32 v5, acc87                       // glvw 3 mb 0 tt1 29 r 0
v_accvgpr_read_b32 v6, acc151                      // glvw 3 mb 0 tt1 29 r 0
v_accvgpr_read_b32 v7, acc215                      // glvw 3 mb 0 tt1 29 r 0
s_nop 1                                            // v_accvgpr read vgpr after write vgpr: 2 wait states
ds_bpermute_b32 v5, v0, v5, offset:12              // permute edge values
ds_bpermute_b32 v6, v0, v6, offset:12              // permute edge values
	;; [unrolled: 1-line block ×3, first 2 shown]
s_waitcnt 0                                        // wait for swizzle operation
v_accvgpr_write_b32 acc23, v5                      // 
v_accvgpr_write_b32 acc87, v6                      // 
v_accvgpr_write_b32 acc151, v7                     // 
v_accvgpr_read_b32 v5, acc103                      // glvw 3 mb 0 tt1 30 r 0
v_accvgpr_read_b32 v6, acc167                      // glvw 3 mb 0 tt1 30 r 0
v_accvgpr_read_b32 v7, acc231                      // glvw 3 mb 0 tt1 30 r 0
s_nop 1                                            // v_accvgpr read vgpr after write vgpr: 2 wait states
ds_bpermute_b32 v5, v0, v5, offset:12              // permute edge values
ds_bpermute_b32 v6, v0, v6, offset:12              // permute edge values
	;; [unrolled: 1-line block ×3, first 2 shown]
s_waitcnt 0                                        // wait for swizzle operation
v_accvgpr_write_b32 acc39, v5                      // 
v_accvgpr_write_b32 acc103, v6                     // 
v_accvgpr_write_b32 acc167, v7                     // 
v_accvgpr_read_b32 v5, acc119                      // glvw 3 mb 0 tt1 31 r 0
v_accvgpr_read_b32 v6, acc183                      // glvw 3 mb 0 tt1 31 r 0
v_accvgpr_read_b32 v7, acc247                      // glvw 3 mb 0 tt1 31 r 0
s_nop 1                                            // v_accvgpr read vgpr after write vgpr: 2 wait states
ds_bpermute_b32 v5, v0, v5, offset:12              // permute edge values
ds_bpermute_b32 v6, v0, v6, offset:12              // permute edge values
	;; [unrolled: 1-line block ×3, first 2 shown]
s_waitcnt 0                                        // wait for swizzle operation
v_accvgpr_write_b32 acc55, v5                      // 
v_accvgpr_write_b32 acc119, v6                     // 
v_accvgpr_write_b32 acc183, v7                     // 
v_accvgpr_read_b32 v5, acc72                       // glvw 3 mb 0 tt1 32 r 0
v_accvgpr_read_b32 v6, acc136                      // glvw 3 mb 0 tt1 32 r 0
v_accvgpr_read_b32 v7, acc200                      // glvw 3 mb 0 tt1 32 r 0
s_nop 1                                            // v_accvgpr read vgpr after write vgpr: 2 wait states
ds_bpermute_b32 v5, v0, v5, offset:12              // permute edge values
ds_bpermute_b32 v6, v0, v6, offset:12              // permute edge values
	;; [unrolled: 1-line block ×3, first 2 shown]
s_waitcnt 0                                        // wait for swizzle operation
v_accvgpr_write_b32 acc8, v5                       // 
v_accvgpr_write_b32 acc72, v6                      // 
v_accvgpr_write_b32 acc136, v7                     // 
v_accvgpr_read_b32 v5, acc88                       // glvw 3 mb 0 tt1 33 r 0
v_accvgpr_read_b32 v6, acc152                      // glvw 3 mb 0 tt1 33 r 0
v_accvgpr_read_b32 v7, acc216                      // glvw 3 mb 0 tt1 33 r 0
s_nop 1                                            // v_accvgpr read vgpr after write vgpr: 2 wait states
ds_bpermute_b32 v5, v0, v5, offset:12              // permute edge values
ds_bpermute_b32 v6, v0, v6, offset:12              // permute edge values
	;; [unrolled: 1-line block ×3, first 2 shown]
s_waitcnt 0                                        // wait for swizzle operation
v_accvgpr_write_b32 acc24, v5                      // 
v_accvgpr_write_b32 acc88, v6                      // 
v_accvgpr_write_b32 acc152, v7                     // 
v_accvgpr_read_b32 v5, acc104                      // glvw 3 mb 0 tt1 34 r 0
v_accvgpr_read_b32 v6, acc168                      // glvw 3 mb 0 tt1 34 r 0
v_accvgpr_read_b32 v7, acc232                      // glvw 3 mb 0 tt1 34 r 0
s_nop 1                                            // v_accvgpr read vgpr after write vgpr: 2 wait states
ds_bpermute_b32 v5, v0, v5, offset:12              // permute edge values
ds_bpermute_b32 v6, v0, v6, offset:12              // permute edge values
	;; [unrolled: 1-line block ×3, first 2 shown]
s_waitcnt 0                                        // wait for swizzle operation
v_accvgpr_write_b32 acc40, v5                      // 
v_accvgpr_write_b32 acc104, v6                     // 
v_accvgpr_write_b32 acc168, v7                     // 
v_accvgpr_read_b32 v5, acc120                      // glvw 3 mb 0 tt1 35 r 0
v_accvgpr_read_b32 v6, acc184                      // glvw 3 mb 0 tt1 35 r 0
v_accvgpr_read_b32 v7, acc248                      // glvw 3 mb 0 tt1 35 r 0
s_nop 1                                            // v_accvgpr read vgpr after write vgpr: 2 wait states
ds_bpermute_b32 v5, v0, v5, offset:12              // permute edge values
ds_bpermute_b32 v6, v0, v6, offset:12              // permute edge values
	;; [unrolled: 1-line block ×3, first 2 shown]
s_waitcnt 0                                        // wait for swizzle operation
v_accvgpr_write_b32 acc56, v5                      // 
v_accvgpr_write_b32 acc120, v6                     // 
v_accvgpr_write_b32 acc184, v7                     // 
v_accvgpr_read_b32 v5, acc73                       // glvw 3 mb 0 tt1 36 r 0
v_accvgpr_read_b32 v6, acc137                      // glvw 3 mb 0 tt1 36 r 0
v_accvgpr_read_b32 v7, acc201                      // glvw 3 mb 0 tt1 36 r 0
s_nop 1                                            // v_accvgpr read vgpr after write vgpr: 2 wait states
ds_bpermute_b32 v5, v0, v5, offset:12              // permute edge values
ds_bpermute_b32 v6, v0, v6, offset:12              // permute edge values
	;; [unrolled: 1-line block ×3, first 2 shown]
s_waitcnt 0                                        // wait for swizzle operation
v_accvgpr_write_b32 acc9, v5                       // 
v_accvgpr_write_b32 acc73, v6                      // 
v_accvgpr_write_b32 acc137, v7                     // 
v_accvgpr_read_b32 v5, acc89                       // glvw 3 mb 0 tt1 37 r 0
v_accvgpr_read_b32 v6, acc153                      // glvw 3 mb 0 tt1 37 r 0
v_accvgpr_read_b32 v7, acc217                      // glvw 3 mb 0 tt1 37 r 0
s_nop 1                                            // v_accvgpr read vgpr after write vgpr: 2 wait states
ds_bpermute_b32 v5, v0, v5, offset:12              // permute edge values
ds_bpermute_b32 v6, v0, v6, offset:12              // permute edge values
	;; [unrolled: 1-line block ×3, first 2 shown]
s_waitcnt 0                                        // wait for swizzle operation
v_accvgpr_write_b32 acc25, v5                      // 
v_accvgpr_write_b32 acc89, v6                      // 
v_accvgpr_write_b32 acc153, v7                     // 
v_accvgpr_read_b32 v5, acc105                      // glvw 3 mb 0 tt1 38 r 0
v_accvgpr_read_b32 v6, acc169                      // glvw 3 mb 0 tt1 38 r 0
v_accvgpr_read_b32 v7, acc233                      // glvw 3 mb 0 tt1 38 r 0
s_nop 1                                            // v_accvgpr read vgpr after write vgpr: 2 wait states
ds_bpermute_b32 v5, v0, v5, offset:12              // permute edge values
ds_bpermute_b32 v6, v0, v6, offset:12              // permute edge values
	;; [unrolled: 1-line block ×3, first 2 shown]
s_waitcnt 0                                        // wait for swizzle operation
v_accvgpr_write_b32 acc41, v5                      // 
v_accvgpr_write_b32 acc105, v6                     // 
v_accvgpr_write_b32 acc169, v7                     // 
v_accvgpr_read_b32 v5, acc121                      // glvw 3 mb 0 tt1 39 r 0
v_accvgpr_read_b32 v6, acc185                      // glvw 3 mb 0 tt1 39 r 0
v_accvgpr_read_b32 v7, acc249                      // glvw 3 mb 0 tt1 39 r 0
s_nop 1                                            // v_accvgpr read vgpr after write vgpr: 2 wait states
ds_bpermute_b32 v5, v0, v5, offset:12              // permute edge values
ds_bpermute_b32 v6, v0, v6, offset:12              // permute edge values
	;; [unrolled: 1-line block ×3, first 2 shown]
s_waitcnt 0                                        // wait for swizzle operation
v_accvgpr_write_b32 acc57, v5                      // 
v_accvgpr_write_b32 acc121, v6                     // 
v_accvgpr_write_b32 acc185, v7                     // 
v_accvgpr_read_b32 v5, acc74                       // glvw 3 mb 0 tt1 40 r 0
v_accvgpr_read_b32 v6, acc138                      // glvw 3 mb 0 tt1 40 r 0
v_accvgpr_read_b32 v7, acc202                      // glvw 3 mb 0 tt1 40 r 0
s_nop 1                                            // v_accvgpr read vgpr after write vgpr: 2 wait states
ds_bpermute_b32 v5, v0, v5, offset:12              // permute edge values
ds_bpermute_b32 v6, v0, v6, offset:12              // permute edge values
	;; [unrolled: 1-line block ×3, first 2 shown]
s_waitcnt 0                                        // wait for swizzle operation
v_accvgpr_write_b32 acc10, v5                      // 
v_accvgpr_write_b32 acc74, v6                      // 
v_accvgpr_write_b32 acc138, v7                     // 
v_accvgpr_read_b32 v5, acc90                       // glvw 3 mb 0 tt1 41 r 0
v_accvgpr_read_b32 v6, acc154                      // glvw 3 mb 0 tt1 41 r 0
v_accvgpr_read_b32 v7, acc218                      // glvw 3 mb 0 tt1 41 r 0
s_nop 1                                            // v_accvgpr read vgpr after write vgpr: 2 wait states
ds_bpermute_b32 v5, v0, v5, offset:12              // permute edge values
ds_bpermute_b32 v6, v0, v6, offset:12              // permute edge values
	;; [unrolled: 1-line block ×3, first 2 shown]
s_waitcnt 0                                        // wait for swizzle operation
v_accvgpr_write_b32 acc26, v5                      // 
v_accvgpr_write_b32 acc90, v6                      // 
v_accvgpr_write_b32 acc154, v7                     // 
v_accvgpr_read_b32 v5, acc106                      // glvw 3 mb 0 tt1 42 r 0
v_accvgpr_read_b32 v6, acc170                      // glvw 3 mb 0 tt1 42 r 0
v_accvgpr_read_b32 v7, acc234                      // glvw 3 mb 0 tt1 42 r 0
s_nop 1                                            // v_accvgpr read vgpr after write vgpr: 2 wait states
ds_bpermute_b32 v5, v0, v5, offset:12              // permute edge values
ds_bpermute_b32 v6, v0, v6, offset:12              // permute edge values
	;; [unrolled: 1-line block ×3, first 2 shown]
s_waitcnt 0                                        // wait for swizzle operation
v_accvgpr_write_b32 acc42, v5                      // 
v_accvgpr_write_b32 acc106, v6                     // 
v_accvgpr_write_b32 acc170, v7                     // 
v_accvgpr_read_b32 v5, acc122                      // glvw 3 mb 0 tt1 43 r 0
v_accvgpr_read_b32 v6, acc186                      // glvw 3 mb 0 tt1 43 r 0
v_accvgpr_read_b32 v7, acc250                      // glvw 3 mb 0 tt1 43 r 0
s_nop 1                                            // v_accvgpr read vgpr after write vgpr: 2 wait states
ds_bpermute_b32 v5, v0, v5, offset:12              // permute edge values
ds_bpermute_b32 v6, v0, v6, offset:12              // permute edge values
	;; [unrolled: 1-line block ×3, first 2 shown]
s_waitcnt 0                                        // wait for swizzle operation
v_accvgpr_write_b32 acc58, v5                      // 
v_accvgpr_write_b32 acc122, v6                     // 
v_accvgpr_write_b32 acc186, v7                     // 
v_accvgpr_read_b32 v5, acc75                       // glvw 3 mb 0 tt1 44 r 0
v_accvgpr_read_b32 v6, acc139                      // glvw 3 mb 0 tt1 44 r 0
v_accvgpr_read_b32 v7, acc203                      // glvw 3 mb 0 tt1 44 r 0
s_nop 1                                            // v_accvgpr read vgpr after write vgpr: 2 wait states
ds_bpermute_b32 v5, v0, v5, offset:12              // permute edge values
ds_bpermute_b32 v6, v0, v6, offset:12              // permute edge values
	;; [unrolled: 1-line block ×3, first 2 shown]
s_waitcnt 0                                        // wait for swizzle operation
v_accvgpr_write_b32 acc11, v5                      // 
v_accvgpr_write_b32 acc75, v6                      // 
v_accvgpr_write_b32 acc139, v7                     // 
v_accvgpr_read_b32 v5, acc91                       // glvw 3 mb 0 tt1 45 r 0
v_accvgpr_read_b32 v6, acc155                      // glvw 3 mb 0 tt1 45 r 0
v_accvgpr_read_b32 v7, acc219                      // glvw 3 mb 0 tt1 45 r 0
s_nop 1                                            // v_accvgpr read vgpr after write vgpr: 2 wait states
ds_bpermute_b32 v5, v0, v5, offset:12              // permute edge values
ds_bpermute_b32 v6, v0, v6, offset:12              // permute edge values
ds_bpermute_b32 v7, v0, v7, offset:12              // permute edge values
s_waitcnt 0                                        // wait for swizzle operation
v_accvgpr_write_b32 acc27, v5                      // 
v_accvgpr_write_b32 acc91, v6                      // 
v_accvgpr_write_b32 acc155, v7                     // 
v_accvgpr_read_b32 v5, acc107                      // glvw 3 mb 0 tt1 46 r 0
v_accvgpr_read_b32 v6, acc171                      // glvw 3 mb 0 tt1 46 r 0
v_accvgpr_read_b32 v7, acc235                      // glvw 3 mb 0 tt1 46 r 0
s_nop 1                                            // v_accvgpr read vgpr after write vgpr: 2 wait states
ds_bpermute_b32 v5, v0, v5, offset:12              // permute edge values
ds_bpermute_b32 v6, v0, v6, offset:12              // permute edge values
	;; [unrolled: 1-line block ×3, first 2 shown]
s_waitcnt 0                                        // wait for swizzle operation
v_accvgpr_write_b32 acc43, v5                      // 
v_accvgpr_write_b32 acc107, v6                     // 
v_accvgpr_write_b32 acc171, v7                     // 
v_accvgpr_read_b32 v5, acc123                      // glvw 3 mb 0 tt1 47 r 0
v_accvgpr_read_b32 v6, acc187                      // glvw 3 mb 0 tt1 47 r 0
v_accvgpr_read_b32 v7, acc251                      // glvw 3 mb 0 tt1 47 r 0
s_nop 1                                            // v_accvgpr read vgpr after write vgpr: 2 wait states
ds_bpermute_b32 v5, v0, v5, offset:12              // permute edge values
ds_bpermute_b32 v6, v0, v6, offset:12              // permute edge values
	;; [unrolled: 1-line block ×3, first 2 shown]
s_waitcnt 0                                        // wait for swizzle operation
v_accvgpr_write_b32 acc59, v5                      // 
v_accvgpr_write_b32 acc123, v6                     // 
v_accvgpr_write_b32 acc187, v7                     // 
v_accvgpr_read_b32 v5, acc76                       // glvw 3 mb 0 tt1 48 r 0
v_accvgpr_read_b32 v6, acc140                      // glvw 3 mb 0 tt1 48 r 0
v_accvgpr_read_b32 v7, acc204                      // glvw 3 mb 0 tt1 48 r 0
s_nop 1                                            // v_accvgpr read vgpr after write vgpr: 2 wait states
ds_bpermute_b32 v5, v0, v5, offset:12              // permute edge values
ds_bpermute_b32 v6, v0, v6, offset:12              // permute edge values
	;; [unrolled: 1-line block ×3, first 2 shown]
s_waitcnt 0                                        // wait for swizzle operation
v_accvgpr_write_b32 acc12, v5                      // 
v_accvgpr_write_b32 acc76, v6                      // 
v_accvgpr_write_b32 acc140, v7                     // 
v_accvgpr_read_b32 v5, acc92                       // glvw 3 mb 0 tt1 49 r 0
v_accvgpr_read_b32 v6, acc156                      // glvw 3 mb 0 tt1 49 r 0
v_accvgpr_read_b32 v7, acc220                      // glvw 3 mb 0 tt1 49 r 0
s_nop 1                                            // v_accvgpr read vgpr after write vgpr: 2 wait states
ds_bpermute_b32 v5, v0, v5, offset:12              // permute edge values
ds_bpermute_b32 v6, v0, v6, offset:12              // permute edge values
ds_bpermute_b32 v7, v0, v7, offset:12              // permute edge values
s_waitcnt 0                                        // wait for swizzle operation
v_accvgpr_write_b32 acc28, v5                      // 
v_accvgpr_write_b32 acc92, v6                      // 
v_accvgpr_write_b32 acc156, v7                     // 
v_accvgpr_read_b32 v5, acc108                      // glvw 3 mb 0 tt1 50 r 0
v_accvgpr_read_b32 v6, acc172                      // glvw 3 mb 0 tt1 50 r 0
v_accvgpr_read_b32 v7, acc236                      // glvw 3 mb 0 tt1 50 r 0
s_nop 1                                            // v_accvgpr read vgpr after write vgpr: 2 wait states
ds_bpermute_b32 v5, v0, v5, offset:12              // permute edge values
ds_bpermute_b32 v6, v0, v6, offset:12              // permute edge values
	;; [unrolled: 1-line block ×3, first 2 shown]
s_waitcnt 0                                        // wait for swizzle operation
v_accvgpr_write_b32 acc44, v5                      // 
v_accvgpr_write_b32 acc108, v6                     // 
v_accvgpr_write_b32 acc172, v7                     // 
v_accvgpr_read_b32 v5, acc124                      // glvw 3 mb 0 tt1 51 r 0
v_accvgpr_read_b32 v6, acc188                      // glvw 3 mb 0 tt1 51 r 0
v_accvgpr_read_b32 v7, acc252                      // glvw 3 mb 0 tt1 51 r 0
s_nop 1                                            // v_accvgpr read vgpr after write vgpr: 2 wait states
ds_bpermute_b32 v5, v0, v5, offset:12              // permute edge values
ds_bpermute_b32 v6, v0, v6, offset:12              // permute edge values
	;; [unrolled: 1-line block ×3, first 2 shown]
s_waitcnt 0                                        // wait for swizzle operation
v_accvgpr_write_b32 acc60, v5                      // 
v_accvgpr_write_b32 acc124, v6                     // 
v_accvgpr_write_b32 acc188, v7                     // 
v_accvgpr_read_b32 v5, acc77                       // glvw 3 mb 0 tt1 52 r 0
v_accvgpr_read_b32 v6, acc141                      // glvw 3 mb 0 tt1 52 r 0
v_accvgpr_read_b32 v7, acc205                      // glvw 3 mb 0 tt1 52 r 0
s_nop 1                                            // v_accvgpr read vgpr after write vgpr: 2 wait states
ds_bpermute_b32 v5, v0, v5, offset:12              // permute edge values
ds_bpermute_b32 v6, v0, v6, offset:12              // permute edge values
	;; [unrolled: 1-line block ×3, first 2 shown]
s_waitcnt 0                                        // wait for swizzle operation
v_accvgpr_write_b32 acc13, v5                      // 
v_accvgpr_write_b32 acc77, v6                      // 
v_accvgpr_write_b32 acc141, v7                     // 
v_accvgpr_read_b32 v5, acc93                       // glvw 3 mb 0 tt1 53 r 0
v_accvgpr_read_b32 v6, acc157                      // glvw 3 mb 0 tt1 53 r 0
v_accvgpr_read_b32 v7, acc221                      // glvw 3 mb 0 tt1 53 r 0
s_nop 1                                            // v_accvgpr read vgpr after write vgpr: 2 wait states
ds_bpermute_b32 v5, v0, v5, offset:12              // permute edge values
ds_bpermute_b32 v6, v0, v6, offset:12              // permute edge values
	;; [unrolled: 1-line block ×3, first 2 shown]
s_waitcnt 0                                        // wait for swizzle operation
v_accvgpr_write_b32 acc29, v5                      // 
v_accvgpr_write_b32 acc93, v6                      // 
v_accvgpr_write_b32 acc157, v7                     // 
v_accvgpr_read_b32 v5, acc109                      // glvw 3 mb 0 tt1 54 r 0
v_accvgpr_read_b32 v6, acc173                      // glvw 3 mb 0 tt1 54 r 0
v_accvgpr_read_b32 v7, acc237                      // glvw 3 mb 0 tt1 54 r 0
s_nop 1                                            // v_accvgpr read vgpr after write vgpr: 2 wait states
ds_bpermute_b32 v5, v0, v5, offset:12              // permute edge values
ds_bpermute_b32 v6, v0, v6, offset:12              // permute edge values
	;; [unrolled: 1-line block ×3, first 2 shown]
s_waitcnt 0                                        // wait for swizzle operation
v_accvgpr_write_b32 acc45, v5                      // 
v_accvgpr_write_b32 acc109, v6                     // 
v_accvgpr_write_b32 acc173, v7                     // 
v_accvgpr_read_b32 v5, acc125                      // glvw 3 mb 0 tt1 55 r 0
v_accvgpr_read_b32 v6, acc189                      // glvw 3 mb 0 tt1 55 r 0
v_accvgpr_read_b32 v7, acc253                      // glvw 3 mb 0 tt1 55 r 0
s_nop 1                                            // v_accvgpr read vgpr after write vgpr: 2 wait states
ds_bpermute_b32 v5, v0, v5, offset:12              // permute edge values
ds_bpermute_b32 v6, v0, v6, offset:12              // permute edge values
	;; [unrolled: 1-line block ×3, first 2 shown]
s_waitcnt 0                                        // wait for swizzle operation
v_accvgpr_write_b32 acc61, v5                      // 
v_accvgpr_write_b32 acc125, v6                     // 
v_accvgpr_write_b32 acc189, v7                     // 
v_accvgpr_read_b32 v5, acc78                       // glvw 3 mb 0 tt1 56 r 0
v_accvgpr_read_b32 v6, acc142                      // glvw 3 mb 0 tt1 56 r 0
v_accvgpr_read_b32 v7, acc206                      // glvw 3 mb 0 tt1 56 r 0
s_nop 1                                            // v_accvgpr read vgpr after write vgpr: 2 wait states
ds_bpermute_b32 v5, v0, v5, offset:12              // permute edge values
ds_bpermute_b32 v6, v0, v6, offset:12              // permute edge values
	;; [unrolled: 1-line block ×3, first 2 shown]
s_waitcnt 0                                        // wait for swizzle operation
v_accvgpr_write_b32 acc14, v5                      // 
v_accvgpr_write_b32 acc78, v6                      // 
v_accvgpr_write_b32 acc142, v7                     // 
v_accvgpr_read_b32 v5, acc94                       // glvw 3 mb 0 tt1 57 r 0
v_accvgpr_read_b32 v6, acc158                      // glvw 3 mb 0 tt1 57 r 0
v_accvgpr_read_b32 v7, acc222                      // glvw 3 mb 0 tt1 57 r 0
s_nop 1                                            // v_accvgpr read vgpr after write vgpr: 2 wait states
ds_bpermute_b32 v5, v0, v5, offset:12              // permute edge values
ds_bpermute_b32 v6, v0, v6, offset:12              // permute edge values
	;; [unrolled: 1-line block ×3, first 2 shown]
s_waitcnt 0                                        // wait for swizzle operation
v_accvgpr_write_b32 acc30, v5                      // 
v_accvgpr_write_b32 acc94, v6                      // 
v_accvgpr_write_b32 acc158, v7                     // 
v_accvgpr_read_b32 v5, acc110                      // glvw 3 mb 0 tt1 58 r 0
v_accvgpr_read_b32 v6, acc174                      // glvw 3 mb 0 tt1 58 r 0
v_accvgpr_read_b32 v7, acc238                      // glvw 3 mb 0 tt1 58 r 0
s_nop 1                                            // v_accvgpr read vgpr after write vgpr: 2 wait states
ds_bpermute_b32 v5, v0, v5, offset:12              // permute edge values
ds_bpermute_b32 v6, v0, v6, offset:12              // permute edge values
	;; [unrolled: 1-line block ×3, first 2 shown]
s_waitcnt 0                                        // wait for swizzle operation
v_accvgpr_write_b32 acc46, v5                      // 
v_accvgpr_write_b32 acc110, v6                     // 
v_accvgpr_write_b32 acc174, v7                     // 
v_accvgpr_read_b32 v5, acc126                      // glvw 3 mb 0 tt1 59 r 0
v_accvgpr_read_b32 v6, acc190                      // glvw 3 mb 0 tt1 59 r 0
v_accvgpr_read_b32 v7, acc254                      // glvw 3 mb 0 tt1 59 r 0
s_nop 1                                            // v_accvgpr read vgpr after write vgpr: 2 wait states
ds_bpermute_b32 v5, v0, v5, offset:12              // permute edge values
ds_bpermute_b32 v6, v0, v6, offset:12              // permute edge values
	;; [unrolled: 1-line block ×3, first 2 shown]
s_waitcnt 0                                        // wait for swizzle operation
v_accvgpr_write_b32 acc62, v5                      // 
v_accvgpr_write_b32 acc126, v6                     // 
v_accvgpr_write_b32 acc190, v7                     // 
v_accvgpr_read_b32 v5, acc79                       // glvw 3 mb 0 tt1 60 r 0
v_accvgpr_read_b32 v6, acc143                      // glvw 3 mb 0 tt1 60 r 0
v_accvgpr_read_b32 v7, acc207                      // glvw 3 mb 0 tt1 60 r 0
s_nop 1                                            // v_accvgpr read vgpr after write vgpr: 2 wait states
ds_bpermute_b32 v5, v0, v5, offset:12              // permute edge values
ds_bpermute_b32 v6, v0, v6, offset:12              // permute edge values
	;; [unrolled: 1-line block ×3, first 2 shown]
s_waitcnt 0                                        // wait for swizzle operation
v_accvgpr_write_b32 acc15, v5                      // 
v_accvgpr_write_b32 acc79, v6                      // 
v_accvgpr_write_b32 acc143, v7                     // 
v_accvgpr_read_b32 v5, acc95                       // glvw 3 mb 0 tt1 61 r 0
v_accvgpr_read_b32 v6, acc159                      // glvw 3 mb 0 tt1 61 r 0
v_accvgpr_read_b32 v7, acc223                      // glvw 3 mb 0 tt1 61 r 0
s_nop 1                                            // v_accvgpr read vgpr after write vgpr: 2 wait states
ds_bpermute_b32 v5, v0, v5, offset:12              // permute edge values
ds_bpermute_b32 v6, v0, v6, offset:12              // permute edge values
	;; [unrolled: 1-line block ×3, first 2 shown]
s_waitcnt 0                                        // wait for swizzle operation
v_accvgpr_write_b32 acc31, v5                      // 
v_accvgpr_write_b32 acc95, v6                      // 
v_accvgpr_write_b32 acc159, v7                     // 
v_accvgpr_read_b32 v5, acc111                      // glvw 3 mb 0 tt1 62 r 0
v_accvgpr_read_b32 v6, acc175                      // glvw 3 mb 0 tt1 62 r 0
v_accvgpr_read_b32 v7, acc239                      // glvw 3 mb 0 tt1 62 r 0
s_nop 1                                            // v_accvgpr read vgpr after write vgpr: 2 wait states
ds_bpermute_b32 v5, v0, v5, offset:12              // permute edge values
ds_bpermute_b32 v6, v0, v6, offset:12              // permute edge values
	;; [unrolled: 1-line block ×3, first 2 shown]
s_waitcnt 0                                        // wait for swizzle operation
v_accvgpr_write_b32 acc47, v5                      // 
v_accvgpr_write_b32 acc111, v6                     // 
v_accvgpr_write_b32 acc175, v7                     // 
v_accvgpr_read_b32 v5, acc127                      // glvw 3 mb 0 tt1 63 r 0
v_accvgpr_read_b32 v6, acc191                      // glvw 3 mb 0 tt1 63 r 0
v_accvgpr_read_b32 v7, acc255                      // glvw 3 mb 0 tt1 63 r 0
s_nop 1                                            // v_accvgpr read vgpr after write vgpr: 2 wait states
ds_bpermute_b32 v5, v0, v5, offset:12              // permute edge values
ds_bpermute_b32 v6, v0, v6, offset:12              // permute edge values
	;; [unrolled: 1-line block ×3, first 2 shown]
s_waitcnt 0                                        // wait for swizzle operation
v_accvgpr_write_b32 acc63, v5                      // 
v_accvgpr_write_b32 acc127, v6                     // 
v_accvgpr_write_b32 acc191, v7                     // 
s_mov_b64 s[42:43], 0xFFFFFFFFFFFFFFFF             // to restore all threads active
s_or_saveexec_b64 vcc, s[42:43]                    // all threads active
s_branch label_0222                                // done shifting


/******************************************/
/* shift d1 r=4 mb=0 vw0                  */
/******************************************/
label_0188: // r4 mb0 vw0 
s_mov_b32 s42, 0                                   // 
_v_cmpx_eq_u32 s[42:43], v4, s42                   // is thread in edge glvw region
v_and_b32 v0, 63, v[vgprSerial]                    // permute register between threads
v_lshlrev_b32 v0, 2, v0                            // permute register between threads
v_accvgpr_read_b32 v5, acc0                        // glvw 4 mb 0 tt1 0 r 0
v_accvgpr_read_b32 v6, acc64                       // glvw 4 mb 0 tt1 0 r 0
v_accvgpr_read_b32 v7, acc128                      // glvw 4 mb 0 tt1 0 r 0
v_accvgpr_read_b32 v8, acc192                      // glvw 4 mb 0 tt1 0 r 0
s_nop 1                                            // v_accvgpr read vgpr after write vgpr: 2 wait states
ds_bpermute_b32 v5, v0, v5, offset:12              // permute edge values
ds_bpermute_b32 v6, v0, v6, offset:12              // permute edge values
	;; [unrolled: 1-line block ×4, first 2 shown]
s_waitcnt 0                                        // wait for swizzle operation
v_accvgpr_write_b32 acc0, v5                       // 
v_accvgpr_write_b32 acc64, v6                      // 
v_accvgpr_write_b32 acc128, v7                     // 
v_accvgpr_write_b32 acc192, v8                     // 
v_accvgpr_read_b32 v5, acc16                       // glvw 4 mb 0 tt1 1 r 0
v_accvgpr_read_b32 v6, acc80                       // glvw 4 mb 0 tt1 1 r 0
v_accvgpr_read_b32 v7, acc144                      // glvw 4 mb 0 tt1 1 r 0
v_accvgpr_read_b32 v8, acc208                      // glvw 4 mb 0 tt1 1 r 0
s_nop 1                                            // v_accvgpr read vgpr after write vgpr: 2 wait states
ds_bpermute_b32 v5, v0, v5, offset:12              // permute edge values
ds_bpermute_b32 v6, v0, v6, offset:12              // permute edge values
	;; [unrolled: 1-line block ×4, first 2 shown]
s_waitcnt 0                                        // wait for swizzle operation
v_accvgpr_write_b32 acc16, v5                      // 
v_accvgpr_write_b32 acc80, v6                      // 
v_accvgpr_write_b32 acc144, v7                     // 
v_accvgpr_write_b32 acc208, v8                     // 
v_accvgpr_read_b32 v5, acc32                       // glvw 4 mb 0 tt1 2 r 0
v_accvgpr_read_b32 v6, acc96                       // glvw 4 mb 0 tt1 2 r 0
v_accvgpr_read_b32 v7, acc160                      // glvw 4 mb 0 tt1 2 r 0
v_accvgpr_read_b32 v8, acc224                      // glvw 4 mb 0 tt1 2 r 0
s_nop 1                                            // v_accvgpr read vgpr after write vgpr: 2 wait states
ds_bpermute_b32 v5, v0, v5, offset:12              // permute edge values
ds_bpermute_b32 v6, v0, v6, offset:12              // permute edge values
	;; [unrolled: 1-line block ×4, first 2 shown]
s_waitcnt 0                                        // wait for swizzle operation
v_accvgpr_write_b32 acc32, v5                      // 
v_accvgpr_write_b32 acc96, v6                      // 
v_accvgpr_write_b32 acc160, v7                     // 
v_accvgpr_write_b32 acc224, v8                     // 
v_accvgpr_read_b32 v5, acc48                       // glvw 4 mb 0 tt1 3 r 0
v_accvgpr_read_b32 v6, acc112                      // glvw 4 mb 0 tt1 3 r 0
v_accvgpr_read_b32 v7, acc176                      // glvw 4 mb 0 tt1 3 r 0
v_accvgpr_read_b32 v8, acc240                      // glvw 4 mb 0 tt1 3 r 0
s_nop 1                                            // v_accvgpr read vgpr after write vgpr: 2 wait states
ds_bpermute_b32 v5, v0, v5, offset:12              // permute edge values
ds_bpermute_b32 v6, v0, v6, offset:12              // permute edge values
	;; [unrolled: 1-line block ×4, first 2 shown]
s_waitcnt 0                                        // wait for swizzle operation
v_accvgpr_write_b32 acc48, v5                      // 
v_accvgpr_write_b32 acc112, v6                     // 
v_accvgpr_write_b32 acc176, v7                     // 
v_accvgpr_write_b32 acc240, v8                     // 
v_accvgpr_read_b32 v5, acc1                        // glvw 4 mb 0 tt1 4 r 0
v_accvgpr_read_b32 v6, acc65                       // glvw 4 mb 0 tt1 4 r 0
v_accvgpr_read_b32 v7, acc129                      // glvw 4 mb 0 tt1 4 r 0
v_accvgpr_read_b32 v8, acc193                      // glvw 4 mb 0 tt1 4 r 0
s_nop 1                                            // v_accvgpr read vgpr after write vgpr: 2 wait states
ds_bpermute_b32 v5, v0, v5, offset:12              // permute edge values
ds_bpermute_b32 v6, v0, v6, offset:12              // permute edge values
	;; [unrolled: 1-line block ×4, first 2 shown]
s_waitcnt 0                                        // wait for swizzle operation
v_accvgpr_write_b32 acc1, v5                       // 
v_accvgpr_write_b32 acc65, v6                      // 
v_accvgpr_write_b32 acc129, v7                     // 
v_accvgpr_write_b32 acc193, v8                     // 
v_accvgpr_read_b32 v5, acc17                       // glvw 4 mb 0 tt1 5 r 0
v_accvgpr_read_b32 v6, acc81                       // glvw 4 mb 0 tt1 5 r 0
v_accvgpr_read_b32 v7, acc145                      // glvw 4 mb 0 tt1 5 r 0
v_accvgpr_read_b32 v8, acc209                      // glvw 4 mb 0 tt1 5 r 0
s_nop 1                                            // v_accvgpr read vgpr after write vgpr: 2 wait states
ds_bpermute_b32 v5, v0, v5, offset:12              // permute edge values
ds_bpermute_b32 v6, v0, v6, offset:12              // permute edge values
	;; [unrolled: 1-line block ×4, first 2 shown]
s_waitcnt 0                                        // wait for swizzle operation
v_accvgpr_write_b32 acc17, v5                      // 
v_accvgpr_write_b32 acc81, v6                      // 
v_accvgpr_write_b32 acc145, v7                     // 
v_accvgpr_write_b32 acc209, v8                     // 
v_accvgpr_read_b32 v5, acc33                       // glvw 4 mb 0 tt1 6 r 0
v_accvgpr_read_b32 v6, acc97                       // glvw 4 mb 0 tt1 6 r 0
v_accvgpr_read_b32 v7, acc161                      // glvw 4 mb 0 tt1 6 r 0
v_accvgpr_read_b32 v8, acc225                      // glvw 4 mb 0 tt1 6 r 0
s_nop 1                                            // v_accvgpr read vgpr after write vgpr: 2 wait states
ds_bpermute_b32 v5, v0, v5, offset:12              // permute edge values
ds_bpermute_b32 v6, v0, v6, offset:12              // permute edge values
	;; [unrolled: 1-line block ×4, first 2 shown]
s_waitcnt 0                                        // wait for swizzle operation
v_accvgpr_write_b32 acc33, v5                      // 
v_accvgpr_write_b32 acc97, v6                      // 
v_accvgpr_write_b32 acc161, v7                     // 
v_accvgpr_write_b32 acc225, v8                     // 
v_accvgpr_read_b32 v5, acc49                       // glvw 4 mb 0 tt1 7 r 0
v_accvgpr_read_b32 v6, acc113                      // glvw 4 mb 0 tt1 7 r 0
v_accvgpr_read_b32 v7, acc177                      // glvw 4 mb 0 tt1 7 r 0
v_accvgpr_read_b32 v8, acc241                      // glvw 4 mb 0 tt1 7 r 0
s_nop 1                                            // v_accvgpr read vgpr after write vgpr: 2 wait states
ds_bpermute_b32 v5, v0, v5, offset:12              // permute edge values
ds_bpermute_b32 v6, v0, v6, offset:12              // permute edge values
	;; [unrolled: 1-line block ×4, first 2 shown]
s_waitcnt 0                                        // wait for swizzle operation
v_accvgpr_write_b32 acc49, v5                      // 
v_accvgpr_write_b32 acc113, v6                     // 
v_accvgpr_write_b32 acc177, v7                     // 
v_accvgpr_write_b32 acc241, v8                     // 
v_accvgpr_read_b32 v5, acc2                        // glvw 4 mb 0 tt1 8 r 0
v_accvgpr_read_b32 v6, acc66                       // glvw 4 mb 0 tt1 8 r 0
v_accvgpr_read_b32 v7, acc130                      // glvw 4 mb 0 tt1 8 r 0
v_accvgpr_read_b32 v8, acc194                      // glvw 4 mb 0 tt1 8 r 0
s_nop 1                                            // v_accvgpr read vgpr after write vgpr: 2 wait states
ds_bpermute_b32 v5, v0, v5, offset:12              // permute edge values
ds_bpermute_b32 v6, v0, v6, offset:12              // permute edge values
	;; [unrolled: 1-line block ×4, first 2 shown]
s_waitcnt 0                                        // wait for swizzle operation
v_accvgpr_write_b32 acc2, v5                       // 
v_accvgpr_write_b32 acc66, v6                      // 
v_accvgpr_write_b32 acc130, v7                     // 
v_accvgpr_write_b32 acc194, v8                     // 
v_accvgpr_read_b32 v5, acc18                       // glvw 4 mb 0 tt1 9 r 0
v_accvgpr_read_b32 v6, acc82                       // glvw 4 mb 0 tt1 9 r 0
v_accvgpr_read_b32 v7, acc146                      // glvw 4 mb 0 tt1 9 r 0
v_accvgpr_read_b32 v8, acc210                      // glvw 4 mb 0 tt1 9 r 0
s_nop 1                                            // v_accvgpr read vgpr after write vgpr: 2 wait states
ds_bpermute_b32 v5, v0, v5, offset:12              // permute edge values
ds_bpermute_b32 v6, v0, v6, offset:12              // permute edge values
	;; [unrolled: 1-line block ×4, first 2 shown]
s_waitcnt 0                                        // wait for swizzle operation
v_accvgpr_write_b32 acc18, v5                      // 
v_accvgpr_write_b32 acc82, v6                      // 
v_accvgpr_write_b32 acc146, v7                     // 
v_accvgpr_write_b32 acc210, v8                     // 
v_accvgpr_read_b32 v5, acc34                       // glvw 4 mb 0 tt1 10 r 0
v_accvgpr_read_b32 v6, acc98                       // glvw 4 mb 0 tt1 10 r 0
v_accvgpr_read_b32 v7, acc162                      // glvw 4 mb 0 tt1 10 r 0
v_accvgpr_read_b32 v8, acc226                      // glvw 4 mb 0 tt1 10 r 0
s_nop 1                                            // v_accvgpr read vgpr after write vgpr: 2 wait states
ds_bpermute_b32 v5, v0, v5, offset:12              // permute edge values
ds_bpermute_b32 v6, v0, v6, offset:12              // permute edge values
	;; [unrolled: 1-line block ×4, first 2 shown]
s_waitcnt 0                                        // wait for swizzle operation
v_accvgpr_write_b32 acc34, v5                      // 
v_accvgpr_write_b32 acc98, v6                      // 
v_accvgpr_write_b32 acc162, v7                     // 
v_accvgpr_write_b32 acc226, v8                     // 
v_accvgpr_read_b32 v5, acc50                       // glvw 4 mb 0 tt1 11 r 0
v_accvgpr_read_b32 v6, acc114                      // glvw 4 mb 0 tt1 11 r 0
v_accvgpr_read_b32 v7, acc178                      // glvw 4 mb 0 tt1 11 r 0
v_accvgpr_read_b32 v8, acc242                      // glvw 4 mb 0 tt1 11 r 0
s_nop 1                                            // v_accvgpr read vgpr after write vgpr: 2 wait states
ds_bpermute_b32 v5, v0, v5, offset:12              // permute edge values
ds_bpermute_b32 v6, v0, v6, offset:12              // permute edge values
	;; [unrolled: 1-line block ×4, first 2 shown]
s_waitcnt 0                                        // wait for swizzle operation
v_accvgpr_write_b32 acc50, v5                      // 
v_accvgpr_write_b32 acc114, v6                     // 
v_accvgpr_write_b32 acc178, v7                     // 
v_accvgpr_write_b32 acc242, v8                     // 
v_accvgpr_read_b32 v5, acc3                        // glvw 4 mb 0 tt1 12 r 0
v_accvgpr_read_b32 v6, acc67                       // glvw 4 mb 0 tt1 12 r 0
v_accvgpr_read_b32 v7, acc131                      // glvw 4 mb 0 tt1 12 r 0
v_accvgpr_read_b32 v8, acc195                      // glvw 4 mb 0 tt1 12 r 0
s_nop 1                                            // v_accvgpr read vgpr after write vgpr: 2 wait states
ds_bpermute_b32 v5, v0, v5, offset:12              // permute edge values
ds_bpermute_b32 v6, v0, v6, offset:12              // permute edge values
	;; [unrolled: 1-line block ×4, first 2 shown]
s_waitcnt 0                                        // wait for swizzle operation
v_accvgpr_write_b32 acc3, v5                       // 
v_accvgpr_write_b32 acc67, v6                      // 
v_accvgpr_write_b32 acc131, v7                     // 
v_accvgpr_write_b32 acc195, v8                     // 
v_accvgpr_read_b32 v5, acc19                       // glvw 4 mb 0 tt1 13 r 0
v_accvgpr_read_b32 v6, acc83                       // glvw 4 mb 0 tt1 13 r 0
v_accvgpr_read_b32 v7, acc147                      // glvw 4 mb 0 tt1 13 r 0
v_accvgpr_read_b32 v8, acc211                      // glvw 4 mb 0 tt1 13 r 0
s_nop 1                                            // v_accvgpr read vgpr after write vgpr: 2 wait states
ds_bpermute_b32 v5, v0, v5, offset:12              // permute edge values
ds_bpermute_b32 v6, v0, v6, offset:12              // permute edge values
	;; [unrolled: 1-line block ×4, first 2 shown]
s_waitcnt 0                                        // wait for swizzle operation
v_accvgpr_write_b32 acc19, v5                      // 
v_accvgpr_write_b32 acc83, v6                      // 
v_accvgpr_write_b32 acc147, v7                     // 
v_accvgpr_write_b32 acc211, v8                     // 
v_accvgpr_read_b32 v5, acc35                       // glvw 4 mb 0 tt1 14 r 0
v_accvgpr_read_b32 v6, acc99                       // glvw 4 mb 0 tt1 14 r 0
v_accvgpr_read_b32 v7, acc163                      // glvw 4 mb 0 tt1 14 r 0
v_accvgpr_read_b32 v8, acc227                      // glvw 4 mb 0 tt1 14 r 0
s_nop 1                                            // v_accvgpr read vgpr after write vgpr: 2 wait states
ds_bpermute_b32 v5, v0, v5, offset:12              // permute edge values
ds_bpermute_b32 v6, v0, v6, offset:12              // permute edge values
	;; [unrolled: 1-line block ×4, first 2 shown]
s_waitcnt 0                                        // wait for swizzle operation
v_accvgpr_write_b32 acc35, v5                      // 
v_accvgpr_write_b32 acc99, v6                      // 
v_accvgpr_write_b32 acc163, v7                     // 
v_accvgpr_write_b32 acc227, v8                     // 
v_accvgpr_read_b32 v5, acc51                       // glvw 4 mb 0 tt1 15 r 0
v_accvgpr_read_b32 v6, acc115                      // glvw 4 mb 0 tt1 15 r 0
v_accvgpr_read_b32 v7, acc179                      // glvw 4 mb 0 tt1 15 r 0
v_accvgpr_read_b32 v8, acc243                      // glvw 4 mb 0 tt1 15 r 0
s_nop 1                                            // v_accvgpr read vgpr after write vgpr: 2 wait states
ds_bpermute_b32 v5, v0, v5, offset:12              // permute edge values
ds_bpermute_b32 v6, v0, v6, offset:12              // permute edge values
	;; [unrolled: 1-line block ×4, first 2 shown]
s_waitcnt 0                                        // wait for swizzle operation
v_accvgpr_write_b32 acc51, v5                      // 
v_accvgpr_write_b32 acc115, v6                     // 
v_accvgpr_write_b32 acc179, v7                     // 
v_accvgpr_write_b32 acc243, v8                     // 
v_accvgpr_read_b32 v5, acc4                        // glvw 4 mb 0 tt1 16 r 0
v_accvgpr_read_b32 v6, acc68                       // glvw 4 mb 0 tt1 16 r 0
v_accvgpr_read_b32 v7, acc132                      // glvw 4 mb 0 tt1 16 r 0
v_accvgpr_read_b32 v8, acc196                      // glvw 4 mb 0 tt1 16 r 0
s_nop 1                                            // v_accvgpr read vgpr after write vgpr: 2 wait states
ds_bpermute_b32 v5, v0, v5, offset:12              // permute edge values
ds_bpermute_b32 v6, v0, v6, offset:12              // permute edge values
	;; [unrolled: 1-line block ×4, first 2 shown]
s_waitcnt 0                                        // wait for swizzle operation
v_accvgpr_write_b32 acc4, v5                       // 
v_accvgpr_write_b32 acc68, v6                      // 
v_accvgpr_write_b32 acc132, v7                     // 
v_accvgpr_write_b32 acc196, v8                     // 
v_accvgpr_read_b32 v5, acc20                       // glvw 4 mb 0 tt1 17 r 0
v_accvgpr_read_b32 v6, acc84                       // glvw 4 mb 0 tt1 17 r 0
v_accvgpr_read_b32 v7, acc148                      // glvw 4 mb 0 tt1 17 r 0
v_accvgpr_read_b32 v8, acc212                      // glvw 4 mb 0 tt1 17 r 0
s_nop 1                                            // v_accvgpr read vgpr after write vgpr: 2 wait states
ds_bpermute_b32 v5, v0, v5, offset:12              // permute edge values
ds_bpermute_b32 v6, v0, v6, offset:12              // permute edge values
	;; [unrolled: 1-line block ×4, first 2 shown]
s_waitcnt 0                                        // wait for swizzle operation
v_accvgpr_write_b32 acc20, v5                      // 
v_accvgpr_write_b32 acc84, v6                      // 
v_accvgpr_write_b32 acc148, v7                     // 
v_accvgpr_write_b32 acc212, v8                     // 
v_accvgpr_read_b32 v5, acc36                       // glvw 4 mb 0 tt1 18 r 0
v_accvgpr_read_b32 v6, acc100                      // glvw 4 mb 0 tt1 18 r 0
v_accvgpr_read_b32 v7, acc164                      // glvw 4 mb 0 tt1 18 r 0
v_accvgpr_read_b32 v8, acc228                      // glvw 4 mb 0 tt1 18 r 0
s_nop 1                                            // v_accvgpr read vgpr after write vgpr: 2 wait states
ds_bpermute_b32 v5, v0, v5, offset:12              // permute edge values
ds_bpermute_b32 v6, v0, v6, offset:12              // permute edge values
	;; [unrolled: 1-line block ×4, first 2 shown]
s_waitcnt 0                                        // wait for swizzle operation
v_accvgpr_write_b32 acc36, v5                      // 
v_accvgpr_write_b32 acc100, v6                     // 
v_accvgpr_write_b32 acc164, v7                     // 
v_accvgpr_write_b32 acc228, v8                     // 
v_accvgpr_read_b32 v5, acc52                       // glvw 4 mb 0 tt1 19 r 0
v_accvgpr_read_b32 v6, acc116                      // glvw 4 mb 0 tt1 19 r 0
v_accvgpr_read_b32 v7, acc180                      // glvw 4 mb 0 tt1 19 r 0
v_accvgpr_read_b32 v8, acc244                      // glvw 4 mb 0 tt1 19 r 0
s_nop 1                                            // v_accvgpr read vgpr after write vgpr: 2 wait states
ds_bpermute_b32 v5, v0, v5, offset:12              // permute edge values
ds_bpermute_b32 v6, v0, v6, offset:12              // permute edge values
	;; [unrolled: 1-line block ×4, first 2 shown]
s_waitcnt 0                                        // wait for swizzle operation
v_accvgpr_write_b32 acc52, v5                      // 
v_accvgpr_write_b32 acc116, v6                     // 
v_accvgpr_write_b32 acc180, v7                     // 
v_accvgpr_write_b32 acc244, v8                     // 
v_accvgpr_read_b32 v5, acc5                        // glvw 4 mb 0 tt1 20 r 0
v_accvgpr_read_b32 v6, acc69                       // glvw 4 mb 0 tt1 20 r 0
v_accvgpr_read_b32 v7, acc133                      // glvw 4 mb 0 tt1 20 r 0
v_accvgpr_read_b32 v8, acc197                      // glvw 4 mb 0 tt1 20 r 0
s_nop 1                                            // v_accvgpr read vgpr after write vgpr: 2 wait states
ds_bpermute_b32 v5, v0, v5, offset:12              // permute edge values
ds_bpermute_b32 v6, v0, v6, offset:12              // permute edge values
	;; [unrolled: 1-line block ×4, first 2 shown]
s_waitcnt 0                                        // wait for swizzle operation
v_accvgpr_write_b32 acc5, v5                       // 
v_accvgpr_write_b32 acc69, v6                      // 
v_accvgpr_write_b32 acc133, v7                     // 
v_accvgpr_write_b32 acc197, v8                     // 
v_accvgpr_read_b32 v5, acc21                       // glvw 4 mb 0 tt1 21 r 0
v_accvgpr_read_b32 v6, acc85                       // glvw 4 mb 0 tt1 21 r 0
v_accvgpr_read_b32 v7, acc149                      // glvw 4 mb 0 tt1 21 r 0
v_accvgpr_read_b32 v8, acc213                      // glvw 4 mb 0 tt1 21 r 0
s_nop 1                                            // v_accvgpr read vgpr after write vgpr: 2 wait states
ds_bpermute_b32 v5, v0, v5, offset:12              // permute edge values
ds_bpermute_b32 v6, v0, v6, offset:12              // permute edge values
	;; [unrolled: 1-line block ×4, first 2 shown]
s_waitcnt 0                                        // wait for swizzle operation
v_accvgpr_write_b32 acc21, v5                      // 
v_accvgpr_write_b32 acc85, v6                      // 
v_accvgpr_write_b32 acc149, v7                     // 
v_accvgpr_write_b32 acc213, v8                     // 
v_accvgpr_read_b32 v5, acc37                       // glvw 4 mb 0 tt1 22 r 0
v_accvgpr_read_b32 v6, acc101                      // glvw 4 mb 0 tt1 22 r 0
v_accvgpr_read_b32 v7, acc165                      // glvw 4 mb 0 tt1 22 r 0
v_accvgpr_read_b32 v8, acc229                      // glvw 4 mb 0 tt1 22 r 0
s_nop 1                                            // v_accvgpr read vgpr after write vgpr: 2 wait states
ds_bpermute_b32 v5, v0, v5, offset:12              // permute edge values
ds_bpermute_b32 v6, v0, v6, offset:12              // permute edge values
	;; [unrolled: 1-line block ×4, first 2 shown]
s_waitcnt 0                                        // wait for swizzle operation
v_accvgpr_write_b32 acc37, v5                      // 
v_accvgpr_write_b32 acc101, v6                     // 
v_accvgpr_write_b32 acc165, v7                     // 
v_accvgpr_write_b32 acc229, v8                     // 
v_accvgpr_read_b32 v5, acc53                       // glvw 4 mb 0 tt1 23 r 0
v_accvgpr_read_b32 v6, acc117                      // glvw 4 mb 0 tt1 23 r 0
v_accvgpr_read_b32 v7, acc181                      // glvw 4 mb 0 tt1 23 r 0
v_accvgpr_read_b32 v8, acc245                      // glvw 4 mb 0 tt1 23 r 0
s_nop 1                                            // v_accvgpr read vgpr after write vgpr: 2 wait states
ds_bpermute_b32 v5, v0, v5, offset:12              // permute edge values
ds_bpermute_b32 v6, v0, v6, offset:12              // permute edge values
	;; [unrolled: 1-line block ×4, first 2 shown]
s_waitcnt 0                                        // wait for swizzle operation
v_accvgpr_write_b32 acc53, v5                      // 
v_accvgpr_write_b32 acc117, v6                     // 
v_accvgpr_write_b32 acc181, v7                     // 
v_accvgpr_write_b32 acc245, v8                     // 
v_accvgpr_read_b32 v5, acc6                        // glvw 4 mb 0 tt1 24 r 0
v_accvgpr_read_b32 v6, acc70                       // glvw 4 mb 0 tt1 24 r 0
v_accvgpr_read_b32 v7, acc134                      // glvw 4 mb 0 tt1 24 r 0
v_accvgpr_read_b32 v8, acc198                      // glvw 4 mb 0 tt1 24 r 0
s_nop 1                                            // v_accvgpr read vgpr after write vgpr: 2 wait states
ds_bpermute_b32 v5, v0, v5, offset:12              // permute edge values
ds_bpermute_b32 v6, v0, v6, offset:12              // permute edge values
	;; [unrolled: 1-line block ×4, first 2 shown]
s_waitcnt 0                                        // wait for swizzle operation
v_accvgpr_write_b32 acc6, v5                       // 
v_accvgpr_write_b32 acc70, v6                      // 
v_accvgpr_write_b32 acc134, v7                     // 
v_accvgpr_write_b32 acc198, v8                     // 
v_accvgpr_read_b32 v5, acc22                       // glvw 4 mb 0 tt1 25 r 0
v_accvgpr_read_b32 v6, acc86                       // glvw 4 mb 0 tt1 25 r 0
v_accvgpr_read_b32 v7, acc150                      // glvw 4 mb 0 tt1 25 r 0
v_accvgpr_read_b32 v8, acc214                      // glvw 4 mb 0 tt1 25 r 0
s_nop 1                                            // v_accvgpr read vgpr after write vgpr: 2 wait states
ds_bpermute_b32 v5, v0, v5, offset:12              // permute edge values
ds_bpermute_b32 v6, v0, v6, offset:12              // permute edge values
	;; [unrolled: 1-line block ×4, first 2 shown]
s_waitcnt 0                                        // wait for swizzle operation
v_accvgpr_write_b32 acc22, v5                      // 
v_accvgpr_write_b32 acc86, v6                      // 
v_accvgpr_write_b32 acc150, v7                     // 
v_accvgpr_write_b32 acc214, v8                     // 
v_accvgpr_read_b32 v5, acc38                       // glvw 4 mb 0 tt1 26 r 0
v_accvgpr_read_b32 v6, acc102                      // glvw 4 mb 0 tt1 26 r 0
v_accvgpr_read_b32 v7, acc166                      // glvw 4 mb 0 tt1 26 r 0
v_accvgpr_read_b32 v8, acc230                      // glvw 4 mb 0 tt1 26 r 0
s_nop 1                                            // v_accvgpr read vgpr after write vgpr: 2 wait states
ds_bpermute_b32 v5, v0, v5, offset:12              // permute edge values
ds_bpermute_b32 v6, v0, v6, offset:12              // permute edge values
	;; [unrolled: 1-line block ×4, first 2 shown]
s_waitcnt 0                                        // wait for swizzle operation
v_accvgpr_write_b32 acc38, v5                      // 
v_accvgpr_write_b32 acc102, v6                     // 
v_accvgpr_write_b32 acc166, v7                     // 
v_accvgpr_write_b32 acc230, v8                     // 
v_accvgpr_read_b32 v5, acc54                       // glvw 4 mb 0 tt1 27 r 0
v_accvgpr_read_b32 v6, acc118                      // glvw 4 mb 0 tt1 27 r 0
v_accvgpr_read_b32 v7, acc182                      // glvw 4 mb 0 tt1 27 r 0
v_accvgpr_read_b32 v8, acc246                      // glvw 4 mb 0 tt1 27 r 0
s_nop 1                                            // v_accvgpr read vgpr after write vgpr: 2 wait states
ds_bpermute_b32 v5, v0, v5, offset:12              // permute edge values
ds_bpermute_b32 v6, v0, v6, offset:12              // permute edge values
	;; [unrolled: 1-line block ×4, first 2 shown]
s_waitcnt 0                                        // wait for swizzle operation
v_accvgpr_write_b32 acc54, v5                      // 
v_accvgpr_write_b32 acc118, v6                     // 
v_accvgpr_write_b32 acc182, v7                     // 
v_accvgpr_write_b32 acc246, v8                     // 
v_accvgpr_read_b32 v5, acc7                        // glvw 4 mb 0 tt1 28 r 0
v_accvgpr_read_b32 v6, acc71                       // glvw 4 mb 0 tt1 28 r 0
v_accvgpr_read_b32 v7, acc135                      // glvw 4 mb 0 tt1 28 r 0
v_accvgpr_read_b32 v8, acc199                      // glvw 4 mb 0 tt1 28 r 0
s_nop 1                                            // v_accvgpr read vgpr after write vgpr: 2 wait states
ds_bpermute_b32 v5, v0, v5, offset:12              // permute edge values
ds_bpermute_b32 v6, v0, v6, offset:12              // permute edge values
	;; [unrolled: 1-line block ×4, first 2 shown]
s_waitcnt 0                                        // wait for swizzle operation
v_accvgpr_write_b32 acc7, v5                       // 
v_accvgpr_write_b32 acc71, v6                      // 
v_accvgpr_write_b32 acc135, v7                     // 
v_accvgpr_write_b32 acc199, v8                     // 
v_accvgpr_read_b32 v5, acc23                       // glvw 4 mb 0 tt1 29 r 0
v_accvgpr_read_b32 v6, acc87                       // glvw 4 mb 0 tt1 29 r 0
v_accvgpr_read_b32 v7, acc151                      // glvw 4 mb 0 tt1 29 r 0
v_accvgpr_read_b32 v8, acc215                      // glvw 4 mb 0 tt1 29 r 0
s_nop 1                                            // v_accvgpr read vgpr after write vgpr: 2 wait states
ds_bpermute_b32 v5, v0, v5, offset:12              // permute edge values
ds_bpermute_b32 v6, v0, v6, offset:12              // permute edge values
	;; [unrolled: 1-line block ×4, first 2 shown]
s_waitcnt 0                                        // wait for swizzle operation
v_accvgpr_write_b32 acc23, v5                      // 
v_accvgpr_write_b32 acc87, v6                      // 
v_accvgpr_write_b32 acc151, v7                     // 
v_accvgpr_write_b32 acc215, v8                     // 
v_accvgpr_read_b32 v5, acc39                       // glvw 4 mb 0 tt1 30 r 0
v_accvgpr_read_b32 v6, acc103                      // glvw 4 mb 0 tt1 30 r 0
v_accvgpr_read_b32 v7, acc167                      // glvw 4 mb 0 tt1 30 r 0
v_accvgpr_read_b32 v8, acc231                      // glvw 4 mb 0 tt1 30 r 0
s_nop 1                                            // v_accvgpr read vgpr after write vgpr: 2 wait states
ds_bpermute_b32 v5, v0, v5, offset:12              // permute edge values
ds_bpermute_b32 v6, v0, v6, offset:12              // permute edge values
	;; [unrolled: 1-line block ×4, first 2 shown]
s_waitcnt 0                                        // wait for swizzle operation
v_accvgpr_write_b32 acc39, v5                      // 
v_accvgpr_write_b32 acc103, v6                     // 
v_accvgpr_write_b32 acc167, v7                     // 
v_accvgpr_write_b32 acc231, v8                     // 
v_accvgpr_read_b32 v5, acc55                       // glvw 4 mb 0 tt1 31 r 0
v_accvgpr_read_b32 v6, acc119                      // glvw 4 mb 0 tt1 31 r 0
v_accvgpr_read_b32 v7, acc183                      // glvw 4 mb 0 tt1 31 r 0
v_accvgpr_read_b32 v8, acc247                      // glvw 4 mb 0 tt1 31 r 0
s_nop 1                                            // v_accvgpr read vgpr after write vgpr: 2 wait states
ds_bpermute_b32 v5, v0, v5, offset:12              // permute edge values
ds_bpermute_b32 v6, v0, v6, offset:12              // permute edge values
	;; [unrolled: 1-line block ×4, first 2 shown]
s_waitcnt 0                                        // wait for swizzle operation
v_accvgpr_write_b32 acc55, v5                      // 
v_accvgpr_write_b32 acc119, v6                     // 
v_accvgpr_write_b32 acc183, v7                     // 
v_accvgpr_write_b32 acc247, v8                     // 
v_accvgpr_read_b32 v5, acc8                        // glvw 4 mb 0 tt1 32 r 0
v_accvgpr_read_b32 v6, acc72                       // glvw 4 mb 0 tt1 32 r 0
v_accvgpr_read_b32 v7, acc136                      // glvw 4 mb 0 tt1 32 r 0
v_accvgpr_read_b32 v8, acc200                      // glvw 4 mb 0 tt1 32 r 0
s_nop 1                                            // v_accvgpr read vgpr after write vgpr: 2 wait states
ds_bpermute_b32 v5, v0, v5, offset:12              // permute edge values
ds_bpermute_b32 v6, v0, v6, offset:12              // permute edge values
ds_bpermute_b32 v7, v0, v7, offset:12              // permute edge values
ds_bpermute_b32 v8, v0, v8, offset:12              // permute edge values
s_waitcnt 0                                        // wait for swizzle operation
v_accvgpr_write_b32 acc8, v5                       // 
v_accvgpr_write_b32 acc72, v6                      // 
v_accvgpr_write_b32 acc136, v7                     // 
v_accvgpr_write_b32 acc200, v8                     // 
v_accvgpr_read_b32 v5, acc24                       // glvw 4 mb 0 tt1 33 r 0
v_accvgpr_read_b32 v6, acc88                       // glvw 4 mb 0 tt1 33 r 0
v_accvgpr_read_b32 v7, acc152                      // glvw 4 mb 0 tt1 33 r 0
v_accvgpr_read_b32 v8, acc216                      // glvw 4 mb 0 tt1 33 r 0
s_nop 1                                            // v_accvgpr read vgpr after write vgpr: 2 wait states
ds_bpermute_b32 v5, v0, v5, offset:12              // permute edge values
ds_bpermute_b32 v6, v0, v6, offset:12              // permute edge values
	;; [unrolled: 1-line block ×4, first 2 shown]
s_waitcnt 0                                        // wait for swizzle operation
v_accvgpr_write_b32 acc24, v5                      // 
v_accvgpr_write_b32 acc88, v6                      // 
v_accvgpr_write_b32 acc152, v7                     // 
v_accvgpr_write_b32 acc216, v8                     // 
v_accvgpr_read_b32 v5, acc40                       // glvw 4 mb 0 tt1 34 r 0
v_accvgpr_read_b32 v6, acc104                      // glvw 4 mb 0 tt1 34 r 0
v_accvgpr_read_b32 v7, acc168                      // glvw 4 mb 0 tt1 34 r 0
v_accvgpr_read_b32 v8, acc232                      // glvw 4 mb 0 tt1 34 r 0
s_nop 1                                            // v_accvgpr read vgpr after write vgpr: 2 wait states
ds_bpermute_b32 v5, v0, v5, offset:12              // permute edge values
ds_bpermute_b32 v6, v0, v6, offset:12              // permute edge values
	;; [unrolled: 1-line block ×4, first 2 shown]
s_waitcnt 0                                        // wait for swizzle operation
v_accvgpr_write_b32 acc40, v5                      // 
v_accvgpr_write_b32 acc104, v6                     // 
v_accvgpr_write_b32 acc168, v7                     // 
v_accvgpr_write_b32 acc232, v8                     // 
v_accvgpr_read_b32 v5, acc56                       // glvw 4 mb 0 tt1 35 r 0
v_accvgpr_read_b32 v6, acc120                      // glvw 4 mb 0 tt1 35 r 0
v_accvgpr_read_b32 v7, acc184                      // glvw 4 mb 0 tt1 35 r 0
v_accvgpr_read_b32 v8, acc248                      // glvw 4 mb 0 tt1 35 r 0
s_nop 1                                            // v_accvgpr read vgpr after write vgpr: 2 wait states
ds_bpermute_b32 v5, v0, v5, offset:12              // permute edge values
ds_bpermute_b32 v6, v0, v6, offset:12              // permute edge values
	;; [unrolled: 1-line block ×4, first 2 shown]
s_waitcnt 0                                        // wait for swizzle operation
v_accvgpr_write_b32 acc56, v5                      // 
v_accvgpr_write_b32 acc120, v6                     // 
v_accvgpr_write_b32 acc184, v7                     // 
v_accvgpr_write_b32 acc248, v8                     // 
v_accvgpr_read_b32 v5, acc9                        // glvw 4 mb 0 tt1 36 r 0
v_accvgpr_read_b32 v6, acc73                       // glvw 4 mb 0 tt1 36 r 0
v_accvgpr_read_b32 v7, acc137                      // glvw 4 mb 0 tt1 36 r 0
v_accvgpr_read_b32 v8, acc201                      // glvw 4 mb 0 tt1 36 r 0
s_nop 1                                            // v_accvgpr read vgpr after write vgpr: 2 wait states
ds_bpermute_b32 v5, v0, v5, offset:12              // permute edge values
ds_bpermute_b32 v6, v0, v6, offset:12              // permute edge values
	;; [unrolled: 1-line block ×4, first 2 shown]
s_waitcnt 0                                        // wait for swizzle operation
v_accvgpr_write_b32 acc9, v5                       // 
v_accvgpr_write_b32 acc73, v6                      // 
v_accvgpr_write_b32 acc137, v7                     // 
v_accvgpr_write_b32 acc201, v8                     // 
v_accvgpr_read_b32 v5, acc25                       // glvw 4 mb 0 tt1 37 r 0
v_accvgpr_read_b32 v6, acc89                       // glvw 4 mb 0 tt1 37 r 0
v_accvgpr_read_b32 v7, acc153                      // glvw 4 mb 0 tt1 37 r 0
v_accvgpr_read_b32 v8, acc217                      // glvw 4 mb 0 tt1 37 r 0
s_nop 1                                            // v_accvgpr read vgpr after write vgpr: 2 wait states
ds_bpermute_b32 v5, v0, v5, offset:12              // permute edge values
ds_bpermute_b32 v6, v0, v6, offset:12              // permute edge values
ds_bpermute_b32 v7, v0, v7, offset:12              // permute edge values
ds_bpermute_b32 v8, v0, v8, offset:12              // permute edge values
s_waitcnt 0                                        // wait for swizzle operation
v_accvgpr_write_b32 acc25, v5                      // 
v_accvgpr_write_b32 acc89, v6                      // 
v_accvgpr_write_b32 acc153, v7                     // 
v_accvgpr_write_b32 acc217, v8                     // 
v_accvgpr_read_b32 v5, acc41                       // glvw 4 mb 0 tt1 38 r 0
v_accvgpr_read_b32 v6, acc105                      // glvw 4 mb 0 tt1 38 r 0
v_accvgpr_read_b32 v7, acc169                      // glvw 4 mb 0 tt1 38 r 0
v_accvgpr_read_b32 v8, acc233                      // glvw 4 mb 0 tt1 38 r 0
s_nop 1                                            // v_accvgpr read vgpr after write vgpr: 2 wait states
ds_bpermute_b32 v5, v0, v5, offset:12              // permute edge values
ds_bpermute_b32 v6, v0, v6, offset:12              // permute edge values
	;; [unrolled: 1-line block ×4, first 2 shown]
s_waitcnt 0                                        // wait for swizzle operation
v_accvgpr_write_b32 acc41, v5                      // 
v_accvgpr_write_b32 acc105, v6                     // 
v_accvgpr_write_b32 acc169, v7                     // 
v_accvgpr_write_b32 acc233, v8                     // 
v_accvgpr_read_b32 v5, acc57                       // glvw 4 mb 0 tt1 39 r 0
v_accvgpr_read_b32 v6, acc121                      // glvw 4 mb 0 tt1 39 r 0
v_accvgpr_read_b32 v7, acc185                      // glvw 4 mb 0 tt1 39 r 0
v_accvgpr_read_b32 v8, acc249                      // glvw 4 mb 0 tt1 39 r 0
s_nop 1                                            // v_accvgpr read vgpr after write vgpr: 2 wait states
ds_bpermute_b32 v5, v0, v5, offset:12              // permute edge values
ds_bpermute_b32 v6, v0, v6, offset:12              // permute edge values
	;; [unrolled: 1-line block ×4, first 2 shown]
s_waitcnt 0                                        // wait for swizzle operation
v_accvgpr_write_b32 acc57, v5                      // 
v_accvgpr_write_b32 acc121, v6                     // 
v_accvgpr_write_b32 acc185, v7                     // 
v_accvgpr_write_b32 acc249, v8                     // 
v_accvgpr_read_b32 v5, acc10                       // glvw 4 mb 0 tt1 40 r 0
v_accvgpr_read_b32 v6, acc74                       // glvw 4 mb 0 tt1 40 r 0
v_accvgpr_read_b32 v7, acc138                      // glvw 4 mb 0 tt1 40 r 0
v_accvgpr_read_b32 v8, acc202                      // glvw 4 mb 0 tt1 40 r 0
s_nop 1                                            // v_accvgpr read vgpr after write vgpr: 2 wait states
ds_bpermute_b32 v5, v0, v5, offset:12              // permute edge values
ds_bpermute_b32 v6, v0, v6, offset:12              // permute edge values
	;; [unrolled: 1-line block ×4, first 2 shown]
s_waitcnt 0                                        // wait for swizzle operation
v_accvgpr_write_b32 acc10, v5                      // 
v_accvgpr_write_b32 acc74, v6                      // 
v_accvgpr_write_b32 acc138, v7                     // 
v_accvgpr_write_b32 acc202, v8                     // 
v_accvgpr_read_b32 v5, acc26                       // glvw 4 mb 0 tt1 41 r 0
v_accvgpr_read_b32 v6, acc90                       // glvw 4 mb 0 tt1 41 r 0
v_accvgpr_read_b32 v7, acc154                      // glvw 4 mb 0 tt1 41 r 0
v_accvgpr_read_b32 v8, acc218                      // glvw 4 mb 0 tt1 41 r 0
s_nop 1                                            // v_accvgpr read vgpr after write vgpr: 2 wait states
ds_bpermute_b32 v5, v0, v5, offset:12              // permute edge values
ds_bpermute_b32 v6, v0, v6, offset:12              // permute edge values
ds_bpermute_b32 v7, v0, v7, offset:12              // permute edge values
ds_bpermute_b32 v8, v0, v8, offset:12              // permute edge values
s_waitcnt 0                                        // wait for swizzle operation
v_accvgpr_write_b32 acc26, v5                      // 
v_accvgpr_write_b32 acc90, v6                      // 
v_accvgpr_write_b32 acc154, v7                     // 
v_accvgpr_write_b32 acc218, v8                     // 
v_accvgpr_read_b32 v5, acc42                       // glvw 4 mb 0 tt1 42 r 0
v_accvgpr_read_b32 v6, acc106                      // glvw 4 mb 0 tt1 42 r 0
v_accvgpr_read_b32 v7, acc170                      // glvw 4 mb 0 tt1 42 r 0
v_accvgpr_read_b32 v8, acc234                      // glvw 4 mb 0 tt1 42 r 0
s_nop 1                                            // v_accvgpr read vgpr after write vgpr: 2 wait states
ds_bpermute_b32 v5, v0, v5, offset:12              // permute edge values
ds_bpermute_b32 v6, v0, v6, offset:12              // permute edge values
	;; [unrolled: 1-line block ×4, first 2 shown]
s_waitcnt 0                                        // wait for swizzle operation
v_accvgpr_write_b32 acc42, v5                      // 
v_accvgpr_write_b32 acc106, v6                     // 
v_accvgpr_write_b32 acc170, v7                     // 
v_accvgpr_write_b32 acc234, v8                     // 
v_accvgpr_read_b32 v5, acc58                       // glvw 4 mb 0 tt1 43 r 0
v_accvgpr_read_b32 v6, acc122                      // glvw 4 mb 0 tt1 43 r 0
v_accvgpr_read_b32 v7, acc186                      // glvw 4 mb 0 tt1 43 r 0
v_accvgpr_read_b32 v8, acc250                      // glvw 4 mb 0 tt1 43 r 0
s_nop 1                                            // v_accvgpr read vgpr after write vgpr: 2 wait states
ds_bpermute_b32 v5, v0, v5, offset:12              // permute edge values
ds_bpermute_b32 v6, v0, v6, offset:12              // permute edge values
	;; [unrolled: 1-line block ×4, first 2 shown]
s_waitcnt 0                                        // wait for swizzle operation
v_accvgpr_write_b32 acc58, v5                      // 
v_accvgpr_write_b32 acc122, v6                     // 
v_accvgpr_write_b32 acc186, v7                     // 
v_accvgpr_write_b32 acc250, v8                     // 
v_accvgpr_read_b32 v5, acc11                       // glvw 4 mb 0 tt1 44 r 0
v_accvgpr_read_b32 v6, acc75                       // glvw 4 mb 0 tt1 44 r 0
v_accvgpr_read_b32 v7, acc139                      // glvw 4 mb 0 tt1 44 r 0
v_accvgpr_read_b32 v8, acc203                      // glvw 4 mb 0 tt1 44 r 0
s_nop 1                                            // v_accvgpr read vgpr after write vgpr: 2 wait states
ds_bpermute_b32 v5, v0, v5, offset:12              // permute edge values
ds_bpermute_b32 v6, v0, v6, offset:12              // permute edge values
	;; [unrolled: 1-line block ×4, first 2 shown]
s_waitcnt 0                                        // wait for swizzle operation
v_accvgpr_write_b32 acc11, v5                      // 
v_accvgpr_write_b32 acc75, v6                      // 
v_accvgpr_write_b32 acc139, v7                     // 
v_accvgpr_write_b32 acc203, v8                     // 
v_accvgpr_read_b32 v5, acc27                       // glvw 4 mb 0 tt1 45 r 0
v_accvgpr_read_b32 v6, acc91                       // glvw 4 mb 0 tt1 45 r 0
v_accvgpr_read_b32 v7, acc155                      // glvw 4 mb 0 tt1 45 r 0
v_accvgpr_read_b32 v8, acc219                      // glvw 4 mb 0 tt1 45 r 0
s_nop 1                                            // v_accvgpr read vgpr after write vgpr: 2 wait states
ds_bpermute_b32 v5, v0, v5, offset:12              // permute edge values
ds_bpermute_b32 v6, v0, v6, offset:12              // permute edge values
	;; [unrolled: 1-line block ×4, first 2 shown]
s_waitcnt 0                                        // wait for swizzle operation
v_accvgpr_write_b32 acc27, v5                      // 
v_accvgpr_write_b32 acc91, v6                      // 
v_accvgpr_write_b32 acc155, v7                     // 
v_accvgpr_write_b32 acc219, v8                     // 
v_accvgpr_read_b32 v5, acc43                       // glvw 4 mb 0 tt1 46 r 0
v_accvgpr_read_b32 v6, acc107                      // glvw 4 mb 0 tt1 46 r 0
v_accvgpr_read_b32 v7, acc171                      // glvw 4 mb 0 tt1 46 r 0
v_accvgpr_read_b32 v8, acc235                      // glvw 4 mb 0 tt1 46 r 0
s_nop 1                                            // v_accvgpr read vgpr after write vgpr: 2 wait states
ds_bpermute_b32 v5, v0, v5, offset:12              // permute edge values
ds_bpermute_b32 v6, v0, v6, offset:12              // permute edge values
	;; [unrolled: 1-line block ×4, first 2 shown]
s_waitcnt 0                                        // wait for swizzle operation
v_accvgpr_write_b32 acc43, v5                      // 
v_accvgpr_write_b32 acc107, v6                     // 
v_accvgpr_write_b32 acc171, v7                     // 
v_accvgpr_write_b32 acc235, v8                     // 
v_accvgpr_read_b32 v5, acc59                       // glvw 4 mb 0 tt1 47 r 0
v_accvgpr_read_b32 v6, acc123                      // glvw 4 mb 0 tt1 47 r 0
v_accvgpr_read_b32 v7, acc187                      // glvw 4 mb 0 tt1 47 r 0
v_accvgpr_read_b32 v8, acc251                      // glvw 4 mb 0 tt1 47 r 0
s_nop 1                                            // v_accvgpr read vgpr after write vgpr: 2 wait states
ds_bpermute_b32 v5, v0, v5, offset:12              // permute edge values
ds_bpermute_b32 v6, v0, v6, offset:12              // permute edge values
	;; [unrolled: 1-line block ×4, first 2 shown]
s_waitcnt 0                                        // wait for swizzle operation
v_accvgpr_write_b32 acc59, v5                      // 
v_accvgpr_write_b32 acc123, v6                     // 
v_accvgpr_write_b32 acc187, v7                     // 
v_accvgpr_write_b32 acc251, v8                     // 
v_accvgpr_read_b32 v5, acc12                       // glvw 4 mb 0 tt1 48 r 0
v_accvgpr_read_b32 v6, acc76                       // glvw 4 mb 0 tt1 48 r 0
v_accvgpr_read_b32 v7, acc140                      // glvw 4 mb 0 tt1 48 r 0
v_accvgpr_read_b32 v8, acc204                      // glvw 4 mb 0 tt1 48 r 0
s_nop 1                                            // v_accvgpr read vgpr after write vgpr: 2 wait states
ds_bpermute_b32 v5, v0, v5, offset:12              // permute edge values
ds_bpermute_b32 v6, v0, v6, offset:12              // permute edge values
	;; [unrolled: 1-line block ×4, first 2 shown]
s_waitcnt 0                                        // wait for swizzle operation
v_accvgpr_write_b32 acc12, v5                      // 
v_accvgpr_write_b32 acc76, v6                      // 
v_accvgpr_write_b32 acc140, v7                     // 
v_accvgpr_write_b32 acc204, v8                     // 
v_accvgpr_read_b32 v5, acc28                       // glvw 4 mb 0 tt1 49 r 0
v_accvgpr_read_b32 v6, acc92                       // glvw 4 mb 0 tt1 49 r 0
v_accvgpr_read_b32 v7, acc156                      // glvw 4 mb 0 tt1 49 r 0
v_accvgpr_read_b32 v8, acc220                      // glvw 4 mb 0 tt1 49 r 0
s_nop 1                                            // v_accvgpr read vgpr after write vgpr: 2 wait states
ds_bpermute_b32 v5, v0, v5, offset:12              // permute edge values
ds_bpermute_b32 v6, v0, v6, offset:12              // permute edge values
ds_bpermute_b32 v7, v0, v7, offset:12              // permute edge values
ds_bpermute_b32 v8, v0, v8, offset:12              // permute edge values
s_waitcnt 0                                        // wait for swizzle operation
v_accvgpr_write_b32 acc28, v5                      // 
v_accvgpr_write_b32 acc92, v6                      // 
v_accvgpr_write_b32 acc156, v7                     // 
v_accvgpr_write_b32 acc220, v8                     // 
v_accvgpr_read_b32 v5, acc44                       // glvw 4 mb 0 tt1 50 r 0
v_accvgpr_read_b32 v6, acc108                      // glvw 4 mb 0 tt1 50 r 0
v_accvgpr_read_b32 v7, acc172                      // glvw 4 mb 0 tt1 50 r 0
v_accvgpr_read_b32 v8, acc236                      // glvw 4 mb 0 tt1 50 r 0
s_nop 1                                            // v_accvgpr read vgpr after write vgpr: 2 wait states
ds_bpermute_b32 v5, v0, v5, offset:12              // permute edge values
ds_bpermute_b32 v6, v0, v6, offset:12              // permute edge values
	;; [unrolled: 1-line block ×4, first 2 shown]
s_waitcnt 0                                        // wait for swizzle operation
v_accvgpr_write_b32 acc44, v5                      // 
v_accvgpr_write_b32 acc108, v6                     // 
v_accvgpr_write_b32 acc172, v7                     // 
v_accvgpr_write_b32 acc236, v8                     // 
v_accvgpr_read_b32 v5, acc60                       // glvw 4 mb 0 tt1 51 r 0
v_accvgpr_read_b32 v6, acc124                      // glvw 4 mb 0 tt1 51 r 0
v_accvgpr_read_b32 v7, acc188                      // glvw 4 mb 0 tt1 51 r 0
v_accvgpr_read_b32 v8, acc252                      // glvw 4 mb 0 tt1 51 r 0
s_nop 1                                            // v_accvgpr read vgpr after write vgpr: 2 wait states
ds_bpermute_b32 v5, v0, v5, offset:12              // permute edge values
ds_bpermute_b32 v6, v0, v6, offset:12              // permute edge values
	;; [unrolled: 1-line block ×4, first 2 shown]
s_waitcnt 0                                        // wait for swizzle operation
v_accvgpr_write_b32 acc60, v5                      // 
v_accvgpr_write_b32 acc124, v6                     // 
v_accvgpr_write_b32 acc188, v7                     // 
v_accvgpr_write_b32 acc252, v8                     // 
v_accvgpr_read_b32 v5, acc13                       // glvw 4 mb 0 tt1 52 r 0
v_accvgpr_read_b32 v6, acc77                       // glvw 4 mb 0 tt1 52 r 0
v_accvgpr_read_b32 v7, acc141                      // glvw 4 mb 0 tt1 52 r 0
v_accvgpr_read_b32 v8, acc205                      // glvw 4 mb 0 tt1 52 r 0
s_nop 1                                            // v_accvgpr read vgpr after write vgpr: 2 wait states
ds_bpermute_b32 v5, v0, v5, offset:12              // permute edge values
ds_bpermute_b32 v6, v0, v6, offset:12              // permute edge values
	;; [unrolled: 1-line block ×4, first 2 shown]
s_waitcnt 0                                        // wait for swizzle operation
v_accvgpr_write_b32 acc13, v5                      // 
v_accvgpr_write_b32 acc77, v6                      // 
v_accvgpr_write_b32 acc141, v7                     // 
v_accvgpr_write_b32 acc205, v8                     // 
v_accvgpr_read_b32 v5, acc29                       // glvw 4 mb 0 tt1 53 r 0
v_accvgpr_read_b32 v6, acc93                       // glvw 4 mb 0 tt1 53 r 0
v_accvgpr_read_b32 v7, acc157                      // glvw 4 mb 0 tt1 53 r 0
v_accvgpr_read_b32 v8, acc221                      // glvw 4 mb 0 tt1 53 r 0
s_nop 1                                            // v_accvgpr read vgpr after write vgpr: 2 wait states
ds_bpermute_b32 v5, v0, v5, offset:12              // permute edge values
ds_bpermute_b32 v6, v0, v6, offset:12              // permute edge values
ds_bpermute_b32 v7, v0, v7, offset:12              // permute edge values
ds_bpermute_b32 v8, v0, v8, offset:12              // permute edge values
s_waitcnt 0                                        // wait for swizzle operation
v_accvgpr_write_b32 acc29, v5                      // 
v_accvgpr_write_b32 acc93, v6                      // 
v_accvgpr_write_b32 acc157, v7                     // 
v_accvgpr_write_b32 acc221, v8                     // 
v_accvgpr_read_b32 v5, acc45                       // glvw 4 mb 0 tt1 54 r 0
v_accvgpr_read_b32 v6, acc109                      // glvw 4 mb 0 tt1 54 r 0
v_accvgpr_read_b32 v7, acc173                      // glvw 4 mb 0 tt1 54 r 0
v_accvgpr_read_b32 v8, acc237                      // glvw 4 mb 0 tt1 54 r 0
s_nop 1                                            // v_accvgpr read vgpr after write vgpr: 2 wait states
ds_bpermute_b32 v5, v0, v5, offset:12              // permute edge values
ds_bpermute_b32 v6, v0, v6, offset:12              // permute edge values
ds_bpermute_b32 v7, v0, v7, offset:12              // permute edge values
ds_bpermute_b32 v8, v0, v8, offset:12              // permute edge values
s_waitcnt 0                                        // wait for swizzle operation
v_accvgpr_write_b32 acc45, v5                      // 
v_accvgpr_write_b32 acc109, v6                     // 
v_accvgpr_write_b32 acc173, v7                     // 
v_accvgpr_write_b32 acc237, v8                     // 
v_accvgpr_read_b32 v5, acc61                       // glvw 4 mb 0 tt1 55 r 0
v_accvgpr_read_b32 v6, acc125                      // glvw 4 mb 0 tt1 55 r 0
v_accvgpr_read_b32 v7, acc189                      // glvw 4 mb 0 tt1 55 r 0
v_accvgpr_read_b32 v8, acc253                      // glvw 4 mb 0 tt1 55 r 0
s_nop 1                                            // v_accvgpr read vgpr after write vgpr: 2 wait states
ds_bpermute_b32 v5, v0, v5, offset:12              // permute edge values
ds_bpermute_b32 v6, v0, v6, offset:12              // permute edge values
	;; [unrolled: 1-line block ×4, first 2 shown]
s_waitcnt 0                                        // wait for swizzle operation
v_accvgpr_write_b32 acc61, v5                      // 
v_accvgpr_write_b32 acc125, v6                     // 
v_accvgpr_write_b32 acc189, v7                     // 
v_accvgpr_write_b32 acc253, v8                     // 
v_accvgpr_read_b32 v5, acc14                       // glvw 4 mb 0 tt1 56 r 0
v_accvgpr_read_b32 v6, acc78                       // glvw 4 mb 0 tt1 56 r 0
v_accvgpr_read_b32 v7, acc142                      // glvw 4 mb 0 tt1 56 r 0
v_accvgpr_read_b32 v8, acc206                      // glvw 4 mb 0 tt1 56 r 0
s_nop 1                                            // v_accvgpr read vgpr after write vgpr: 2 wait states
ds_bpermute_b32 v5, v0, v5, offset:12              // permute edge values
ds_bpermute_b32 v6, v0, v6, offset:12              // permute edge values
ds_bpermute_b32 v7, v0, v7, offset:12              // permute edge values
ds_bpermute_b32 v8, v0, v8, offset:12              // permute edge values
s_waitcnt 0                                        // wait for swizzle operation
v_accvgpr_write_b32 acc14, v5                      // 
v_accvgpr_write_b32 acc78, v6                      // 
v_accvgpr_write_b32 acc142, v7                     // 
v_accvgpr_write_b32 acc206, v8                     // 
v_accvgpr_read_b32 v5, acc30                       // glvw 4 mb 0 tt1 57 r 0
v_accvgpr_read_b32 v6, acc94                       // glvw 4 mb 0 tt1 57 r 0
v_accvgpr_read_b32 v7, acc158                      // glvw 4 mb 0 tt1 57 r 0
v_accvgpr_read_b32 v8, acc222                      // glvw 4 mb 0 tt1 57 r 0
s_nop 1                                            // v_accvgpr read vgpr after write vgpr: 2 wait states
ds_bpermute_b32 v5, v0, v5, offset:12              // permute edge values
ds_bpermute_b32 v6, v0, v6, offset:12              // permute edge values
	;; [unrolled: 1-line block ×4, first 2 shown]
s_waitcnt 0                                        // wait for swizzle operation
v_accvgpr_write_b32 acc30, v5                      // 
v_accvgpr_write_b32 acc94, v6                      // 
v_accvgpr_write_b32 acc158, v7                     // 
v_accvgpr_write_b32 acc222, v8                     // 
v_accvgpr_read_b32 v5, acc46                       // glvw 4 mb 0 tt1 58 r 0
v_accvgpr_read_b32 v6, acc110                      // glvw 4 mb 0 tt1 58 r 0
v_accvgpr_read_b32 v7, acc174                      // glvw 4 mb 0 tt1 58 r 0
v_accvgpr_read_b32 v8, acc238                      // glvw 4 mb 0 tt1 58 r 0
s_nop 1                                            // v_accvgpr read vgpr after write vgpr: 2 wait states
ds_bpermute_b32 v5, v0, v5, offset:12              // permute edge values
ds_bpermute_b32 v6, v0, v6, offset:12              // permute edge values
ds_bpermute_b32 v7, v0, v7, offset:12              // permute edge values
ds_bpermute_b32 v8, v0, v8, offset:12              // permute edge values
s_waitcnt 0                                        // wait for swizzle operation
v_accvgpr_write_b32 acc46, v5                      // 
v_accvgpr_write_b32 acc110, v6                     // 
v_accvgpr_write_b32 acc174, v7                     // 
v_accvgpr_write_b32 acc238, v8                     // 
v_accvgpr_read_b32 v5, acc62                       // glvw 4 mb 0 tt1 59 r 0
v_accvgpr_read_b32 v6, acc126                      // glvw 4 mb 0 tt1 59 r 0
v_accvgpr_read_b32 v7, acc190                      // glvw 4 mb 0 tt1 59 r 0
v_accvgpr_read_b32 v8, acc254                      // glvw 4 mb 0 tt1 59 r 0
s_nop 1                                            // v_accvgpr read vgpr after write vgpr: 2 wait states
ds_bpermute_b32 v5, v0, v5, offset:12              // permute edge values
ds_bpermute_b32 v6, v0, v6, offset:12              // permute edge values
ds_bpermute_b32 v7, v0, v7, offset:12              // permute edge values
ds_bpermute_b32 v8, v0, v8, offset:12              // permute edge values
s_waitcnt 0                                        // wait for swizzle operation
v_accvgpr_write_b32 acc62, v5                      // 
v_accvgpr_write_b32 acc126, v6                     // 
v_accvgpr_write_b32 acc190, v7                     // 
v_accvgpr_write_b32 acc254, v8                     // 
v_accvgpr_read_b32 v5, acc15                       // glvw 4 mb 0 tt1 60 r 0
v_accvgpr_read_b32 v6, acc79                       // glvw 4 mb 0 tt1 60 r 0
v_accvgpr_read_b32 v7, acc143                      // glvw 4 mb 0 tt1 60 r 0
v_accvgpr_read_b32 v8, acc207                      // glvw 4 mb 0 tt1 60 r 0
s_nop 1                                            // v_accvgpr read vgpr after write vgpr: 2 wait states
ds_bpermute_b32 v5, v0, v5, offset:12              // permute edge values
ds_bpermute_b32 v6, v0, v6, offset:12              // permute edge values
	;; [unrolled: 1-line block ×4, first 2 shown]
s_waitcnt 0                                        // wait for swizzle operation
v_accvgpr_write_b32 acc15, v5                      // 
v_accvgpr_write_b32 acc79, v6                      // 
v_accvgpr_write_b32 acc143, v7                     // 
v_accvgpr_write_b32 acc207, v8                     // 
v_accvgpr_read_b32 v5, acc31                       // glvw 4 mb 0 tt1 61 r 0
v_accvgpr_read_b32 v6, acc95                       // glvw 4 mb 0 tt1 61 r 0
v_accvgpr_read_b32 v7, acc159                      // glvw 4 mb 0 tt1 61 r 0
v_accvgpr_read_b32 v8, acc223                      // glvw 4 mb 0 tt1 61 r 0
s_nop 1                                            // v_accvgpr read vgpr after write vgpr: 2 wait states
ds_bpermute_b32 v5, v0, v5, offset:12              // permute edge values
ds_bpermute_b32 v6, v0, v6, offset:12              // permute edge values
	;; [unrolled: 1-line block ×4, first 2 shown]
s_waitcnt 0                                        // wait for swizzle operation
v_accvgpr_write_b32 acc31, v5                      // 
v_accvgpr_write_b32 acc95, v6                      // 
v_accvgpr_write_b32 acc159, v7                     // 
v_accvgpr_write_b32 acc223, v8                     // 
v_accvgpr_read_b32 v5, acc47                       // glvw 4 mb 0 tt1 62 r 0
v_accvgpr_read_b32 v6, acc111                      // glvw 4 mb 0 tt1 62 r 0
v_accvgpr_read_b32 v7, acc175                      // glvw 4 mb 0 tt1 62 r 0
v_accvgpr_read_b32 v8, acc239                      // glvw 4 mb 0 tt1 62 r 0
s_nop 1                                            // v_accvgpr read vgpr after write vgpr: 2 wait states
ds_bpermute_b32 v5, v0, v5, offset:12              // permute edge values
ds_bpermute_b32 v6, v0, v6, offset:12              // permute edge values
	;; [unrolled: 1-line block ×4, first 2 shown]
s_waitcnt 0                                        // wait for swizzle operation
v_accvgpr_write_b32 acc47, v5                      // 
v_accvgpr_write_b32 acc111, v6                     // 
v_accvgpr_write_b32 acc175, v7                     // 
v_accvgpr_write_b32 acc239, v8                     // 
v_accvgpr_read_b32 v5, acc63                       // glvw 4 mb 0 tt1 63 r 0
v_accvgpr_read_b32 v6, acc127                      // glvw 4 mb 0 tt1 63 r 0
v_accvgpr_read_b32 v7, acc191                      // glvw 4 mb 0 tt1 63 r 0
v_accvgpr_read_b32 v8, acc255                      // glvw 4 mb 0 tt1 63 r 0
s_nop 1                                            // v_accvgpr read vgpr after write vgpr: 2 wait states
ds_bpermute_b32 v5, v0, v5, offset:12              // permute edge values
ds_bpermute_b32 v6, v0, v6, offset:12              // permute edge values
	;; [unrolled: 1-line block ×4, first 2 shown]
s_waitcnt 0                                        // wait for swizzle operation
v_accvgpr_write_b32 acc63, v5                      // 
v_accvgpr_write_b32 acc127, v6                     // 
v_accvgpr_write_b32 acc191, v7                     // 
v_accvgpr_write_b32 acc255, v8                     // 
s_mov_b64 s[42:43], 0xFFFFFFFFFFFFFFFF             // to restore all threads active
s_or_saveexec_b64 vcc, s[42:43]                    // all threads active
s_branch label_0222                                // done shifting


/******************************************/
/* shift d1 r=5 mb=0 vw0                  */
/******************************************/
label_0191: // r5 mb0 vw0 
s_mov_b32 s42, 0                                   // 
_v_cmpx_eq_u32 s[42:43], v4, s42                   // is thread in edge glvw region
v_and_b32 v0, 63, v[vgprSerial]                    // permute register between threads
v_lshlrev_b32 v0, 2, v0                            // permute register between threads
v_accvgpr_read_b32 v5, acc192                      // glvw 5 mb 0 tt1 0 r 0
v_accvgpr_read_b32 v6, acc0                        // glvw 5 mb 0 tt1 0 r 0
v_accvgpr_read_b32 v7, acc64                       // glvw 5 mb 0 tt1 0 r 0
v_accvgpr_read_b32 v8, acc128                      // glvw 5 mb 0 tt1 0 r 0
s_nop 1                                            // v_accvgpr read vgpr after write vgpr: 2 wait states
ds_bpermute_b32 v5, v0, v5, offset:8               // permute edge values
ds_bpermute_b32 v6, v0, v6, offset:12              // permute edge values
ds_bpermute_b32 v7, v0, v7, offset:12              // permute edge values
	;; [unrolled: 1-line block ×3, first 2 shown]
s_waitcnt 0                                        // wait for swizzle operation
v_accvgpr_write_b32 acc0, v5                       // 
v_accvgpr_write_b32 acc64, v6                      // 
v_accvgpr_write_b32 acc128, v7                     // 
v_accvgpr_write_b32 acc192, v8                     // 
v_accvgpr_read_b32 v5, acc208                      // glvw 5 mb 0 tt1 1 r 0
v_accvgpr_read_b32 v6, acc16                       // glvw 5 mb 0 tt1 1 r 0
v_accvgpr_read_b32 v7, acc80                       // glvw 5 mb 0 tt1 1 r 0
v_accvgpr_read_b32 v8, acc144                      // glvw 5 mb 0 tt1 1 r 0
s_nop 1                                            // v_accvgpr read vgpr after write vgpr: 2 wait states
ds_bpermute_b32 v5, v0, v5, offset:8               // permute edge values
ds_bpermute_b32 v6, v0, v6, offset:12              // permute edge values
ds_bpermute_b32 v7, v0, v7, offset:12              // permute edge values
	;; [unrolled: 1-line block ×3, first 2 shown]
s_waitcnt 0                                        // wait for swizzle operation
v_accvgpr_write_b32 acc16, v5                      // 
v_accvgpr_write_b32 acc80, v6                      // 
v_accvgpr_write_b32 acc144, v7                     // 
v_accvgpr_write_b32 acc208, v8                     // 
v_accvgpr_read_b32 v5, acc224                      // glvw 5 mb 0 tt1 2 r 0
v_accvgpr_read_b32 v6, acc32                       // glvw 5 mb 0 tt1 2 r 0
v_accvgpr_read_b32 v7, acc96                       // glvw 5 mb 0 tt1 2 r 0
v_accvgpr_read_b32 v8, acc160                      // glvw 5 mb 0 tt1 2 r 0
s_nop 1                                            // v_accvgpr read vgpr after write vgpr: 2 wait states
ds_bpermute_b32 v5, v0, v5, offset:8               // permute edge values
ds_bpermute_b32 v6, v0, v6, offset:12              // permute edge values
ds_bpermute_b32 v7, v0, v7, offset:12              // permute edge values
ds_bpermute_b32 v8, v0, v8, offset:12              // permute edge values
s_waitcnt 0                                        // wait for swizzle operation
v_accvgpr_write_b32 acc32, v5                      // 
v_accvgpr_write_b32 acc96, v6                      // 
v_accvgpr_write_b32 acc160, v7                     // 
v_accvgpr_write_b32 acc224, v8                     // 
v_accvgpr_read_b32 v5, acc240                      // glvw 5 mb 0 tt1 3 r 0
v_accvgpr_read_b32 v6, acc48                       // glvw 5 mb 0 tt1 3 r 0
v_accvgpr_read_b32 v7, acc112                      // glvw 5 mb 0 tt1 3 r 0
v_accvgpr_read_b32 v8, acc176                      // glvw 5 mb 0 tt1 3 r 0
s_nop 1                                            // v_accvgpr read vgpr after write vgpr: 2 wait states
ds_bpermute_b32 v5, v0, v5, offset:8               // permute edge values
ds_bpermute_b32 v6, v0, v6, offset:12              // permute edge values
ds_bpermute_b32 v7, v0, v7, offset:12              // permute edge values
	;; [unrolled: 1-line block ×3, first 2 shown]
s_waitcnt 0                                        // wait for swizzle operation
v_accvgpr_write_b32 acc48, v5                      // 
v_accvgpr_write_b32 acc112, v6                     // 
v_accvgpr_write_b32 acc176, v7                     // 
v_accvgpr_write_b32 acc240, v8                     // 
v_accvgpr_read_b32 v5, acc193                      // glvw 5 mb 0 tt1 4 r 0
v_accvgpr_read_b32 v6, acc1                        // glvw 5 mb 0 tt1 4 r 0
v_accvgpr_read_b32 v7, acc65                       // glvw 5 mb 0 tt1 4 r 0
v_accvgpr_read_b32 v8, acc129                      // glvw 5 mb 0 tt1 4 r 0
s_nop 1                                            // v_accvgpr read vgpr after write vgpr: 2 wait states
ds_bpermute_b32 v5, v0, v5, offset:8               // permute edge values
ds_bpermute_b32 v6, v0, v6, offset:12              // permute edge values
ds_bpermute_b32 v7, v0, v7, offset:12              // permute edge values
	;; [unrolled: 1-line block ×3, first 2 shown]
s_waitcnt 0                                        // wait for swizzle operation
v_accvgpr_write_b32 acc1, v5                       // 
v_accvgpr_write_b32 acc65, v6                      // 
v_accvgpr_write_b32 acc129, v7                     // 
v_accvgpr_write_b32 acc193, v8                     // 
v_accvgpr_read_b32 v5, acc209                      // glvw 5 mb 0 tt1 5 r 0
v_accvgpr_read_b32 v6, acc17                       // glvw 5 mb 0 tt1 5 r 0
v_accvgpr_read_b32 v7, acc81                       // glvw 5 mb 0 tt1 5 r 0
v_accvgpr_read_b32 v8, acc145                      // glvw 5 mb 0 tt1 5 r 0
s_nop 1                                            // v_accvgpr read vgpr after write vgpr: 2 wait states
ds_bpermute_b32 v5, v0, v5, offset:8               // permute edge values
ds_bpermute_b32 v6, v0, v6, offset:12              // permute edge values
ds_bpermute_b32 v7, v0, v7, offset:12              // permute edge values
	;; [unrolled: 1-line block ×3, first 2 shown]
s_waitcnt 0                                        // wait for swizzle operation
v_accvgpr_write_b32 acc17, v5                      // 
v_accvgpr_write_b32 acc81, v6                      // 
v_accvgpr_write_b32 acc145, v7                     // 
v_accvgpr_write_b32 acc209, v8                     // 
v_accvgpr_read_b32 v5, acc225                      // glvw 5 mb 0 tt1 6 r 0
v_accvgpr_read_b32 v6, acc33                       // glvw 5 mb 0 tt1 6 r 0
v_accvgpr_read_b32 v7, acc97                       // glvw 5 mb 0 tt1 6 r 0
v_accvgpr_read_b32 v8, acc161                      // glvw 5 mb 0 tt1 6 r 0
s_nop 1                                            // v_accvgpr read vgpr after write vgpr: 2 wait states
ds_bpermute_b32 v5, v0, v5, offset:8               // permute edge values
ds_bpermute_b32 v6, v0, v6, offset:12              // permute edge values
ds_bpermute_b32 v7, v0, v7, offset:12              // permute edge values
	;; [unrolled: 1-line block ×3, first 2 shown]
s_waitcnt 0                                        // wait for swizzle operation
v_accvgpr_write_b32 acc33, v5                      // 
v_accvgpr_write_b32 acc97, v6                      // 
v_accvgpr_write_b32 acc161, v7                     // 
v_accvgpr_write_b32 acc225, v8                     // 
v_accvgpr_read_b32 v5, acc241                      // glvw 5 mb 0 tt1 7 r 0
v_accvgpr_read_b32 v6, acc49                       // glvw 5 mb 0 tt1 7 r 0
v_accvgpr_read_b32 v7, acc113                      // glvw 5 mb 0 tt1 7 r 0
v_accvgpr_read_b32 v8, acc177                      // glvw 5 mb 0 tt1 7 r 0
s_nop 1                                            // v_accvgpr read vgpr after write vgpr: 2 wait states
ds_bpermute_b32 v5, v0, v5, offset:8               // permute edge values
ds_bpermute_b32 v6, v0, v6, offset:12              // permute edge values
ds_bpermute_b32 v7, v0, v7, offset:12              // permute edge values
	;; [unrolled: 1-line block ×3, first 2 shown]
s_waitcnt 0                                        // wait for swizzle operation
v_accvgpr_write_b32 acc49, v5                      // 
v_accvgpr_write_b32 acc113, v6                     // 
v_accvgpr_write_b32 acc177, v7                     // 
v_accvgpr_write_b32 acc241, v8                     // 
v_accvgpr_read_b32 v5, acc194                      // glvw 5 mb 0 tt1 8 r 0
v_accvgpr_read_b32 v6, acc2                        // glvw 5 mb 0 tt1 8 r 0
v_accvgpr_read_b32 v7, acc66                       // glvw 5 mb 0 tt1 8 r 0
v_accvgpr_read_b32 v8, acc130                      // glvw 5 mb 0 tt1 8 r 0
s_nop 1                                            // v_accvgpr read vgpr after write vgpr: 2 wait states
ds_bpermute_b32 v5, v0, v5, offset:8               // permute edge values
ds_bpermute_b32 v6, v0, v6, offset:12              // permute edge values
ds_bpermute_b32 v7, v0, v7, offset:12              // permute edge values
	;; [unrolled: 1-line block ×3, first 2 shown]
s_waitcnt 0                                        // wait for swizzle operation
v_accvgpr_write_b32 acc2, v5                       // 
v_accvgpr_write_b32 acc66, v6                      // 
v_accvgpr_write_b32 acc130, v7                     // 
v_accvgpr_write_b32 acc194, v8                     // 
v_accvgpr_read_b32 v5, acc210                      // glvw 5 mb 0 tt1 9 r 0
v_accvgpr_read_b32 v6, acc18                       // glvw 5 mb 0 tt1 9 r 0
v_accvgpr_read_b32 v7, acc82                       // glvw 5 mb 0 tt1 9 r 0
v_accvgpr_read_b32 v8, acc146                      // glvw 5 mb 0 tt1 9 r 0
s_nop 1                                            // v_accvgpr read vgpr after write vgpr: 2 wait states
ds_bpermute_b32 v5, v0, v5, offset:8               // permute edge values
ds_bpermute_b32 v6, v0, v6, offset:12              // permute edge values
ds_bpermute_b32 v7, v0, v7, offset:12              // permute edge values
	;; [unrolled: 1-line block ×3, first 2 shown]
s_waitcnt 0                                        // wait for swizzle operation
v_accvgpr_write_b32 acc18, v5                      // 
v_accvgpr_write_b32 acc82, v6                      // 
v_accvgpr_write_b32 acc146, v7                     // 
v_accvgpr_write_b32 acc210, v8                     // 
v_accvgpr_read_b32 v5, acc226                      // glvw 5 mb 0 tt1 10 r 0
v_accvgpr_read_b32 v6, acc34                       // glvw 5 mb 0 tt1 10 r 0
v_accvgpr_read_b32 v7, acc98                       // glvw 5 mb 0 tt1 10 r 0
v_accvgpr_read_b32 v8, acc162                      // glvw 5 mb 0 tt1 10 r 0
s_nop 1                                            // v_accvgpr read vgpr after write vgpr: 2 wait states
ds_bpermute_b32 v5, v0, v5, offset:8               // permute edge values
ds_bpermute_b32 v6, v0, v6, offset:12              // permute edge values
ds_bpermute_b32 v7, v0, v7, offset:12              // permute edge values
	;; [unrolled: 1-line block ×3, first 2 shown]
s_waitcnt 0                                        // wait for swizzle operation
v_accvgpr_write_b32 acc34, v5                      // 
v_accvgpr_write_b32 acc98, v6                      // 
v_accvgpr_write_b32 acc162, v7                     // 
v_accvgpr_write_b32 acc226, v8                     // 
v_accvgpr_read_b32 v5, acc242                      // glvw 5 mb 0 tt1 11 r 0
v_accvgpr_read_b32 v6, acc50                       // glvw 5 mb 0 tt1 11 r 0
v_accvgpr_read_b32 v7, acc114                      // glvw 5 mb 0 tt1 11 r 0
v_accvgpr_read_b32 v8, acc178                      // glvw 5 mb 0 tt1 11 r 0
s_nop 1                                            // v_accvgpr read vgpr after write vgpr: 2 wait states
ds_bpermute_b32 v5, v0, v5, offset:8               // permute edge values
ds_bpermute_b32 v6, v0, v6, offset:12              // permute edge values
ds_bpermute_b32 v7, v0, v7, offset:12              // permute edge values
	;; [unrolled: 1-line block ×3, first 2 shown]
s_waitcnt 0                                        // wait for swizzle operation
v_accvgpr_write_b32 acc50, v5                      // 
v_accvgpr_write_b32 acc114, v6                     // 
v_accvgpr_write_b32 acc178, v7                     // 
v_accvgpr_write_b32 acc242, v8                     // 
v_accvgpr_read_b32 v5, acc195                      // glvw 5 mb 0 tt1 12 r 0
v_accvgpr_read_b32 v6, acc3                        // glvw 5 mb 0 tt1 12 r 0
v_accvgpr_read_b32 v7, acc67                       // glvw 5 mb 0 tt1 12 r 0
v_accvgpr_read_b32 v8, acc131                      // glvw 5 mb 0 tt1 12 r 0
s_nop 1                                            // v_accvgpr read vgpr after write vgpr: 2 wait states
ds_bpermute_b32 v5, v0, v5, offset:8               // permute edge values
ds_bpermute_b32 v6, v0, v6, offset:12              // permute edge values
ds_bpermute_b32 v7, v0, v7, offset:12              // permute edge values
	;; [unrolled: 1-line block ×3, first 2 shown]
s_waitcnt 0                                        // wait for swizzle operation
v_accvgpr_write_b32 acc3, v5                       // 
v_accvgpr_write_b32 acc67, v6                      // 
v_accvgpr_write_b32 acc131, v7                     // 
v_accvgpr_write_b32 acc195, v8                     // 
v_accvgpr_read_b32 v5, acc211                      // glvw 5 mb 0 tt1 13 r 0
v_accvgpr_read_b32 v6, acc19                       // glvw 5 mb 0 tt1 13 r 0
v_accvgpr_read_b32 v7, acc83                       // glvw 5 mb 0 tt1 13 r 0
v_accvgpr_read_b32 v8, acc147                      // glvw 5 mb 0 tt1 13 r 0
s_nop 1                                            // v_accvgpr read vgpr after write vgpr: 2 wait states
ds_bpermute_b32 v5, v0, v5, offset:8               // permute edge values
ds_bpermute_b32 v6, v0, v6, offset:12              // permute edge values
ds_bpermute_b32 v7, v0, v7, offset:12              // permute edge values
	;; [unrolled: 1-line block ×3, first 2 shown]
s_waitcnt 0                                        // wait for swizzle operation
v_accvgpr_write_b32 acc19, v5                      // 
v_accvgpr_write_b32 acc83, v6                      // 
v_accvgpr_write_b32 acc147, v7                     // 
v_accvgpr_write_b32 acc211, v8                     // 
v_accvgpr_read_b32 v5, acc227                      // glvw 5 mb 0 tt1 14 r 0
v_accvgpr_read_b32 v6, acc35                       // glvw 5 mb 0 tt1 14 r 0
v_accvgpr_read_b32 v7, acc99                       // glvw 5 mb 0 tt1 14 r 0
v_accvgpr_read_b32 v8, acc163                      // glvw 5 mb 0 tt1 14 r 0
s_nop 1                                            // v_accvgpr read vgpr after write vgpr: 2 wait states
ds_bpermute_b32 v5, v0, v5, offset:8               // permute edge values
ds_bpermute_b32 v6, v0, v6, offset:12              // permute edge values
ds_bpermute_b32 v7, v0, v7, offset:12              // permute edge values
	;; [unrolled: 1-line block ×3, first 2 shown]
s_waitcnt 0                                        // wait for swizzle operation
v_accvgpr_write_b32 acc35, v5                      // 
v_accvgpr_write_b32 acc99, v6                      // 
v_accvgpr_write_b32 acc163, v7                     // 
v_accvgpr_write_b32 acc227, v8                     // 
v_accvgpr_read_b32 v5, acc243                      // glvw 5 mb 0 tt1 15 r 0
v_accvgpr_read_b32 v6, acc51                       // glvw 5 mb 0 tt1 15 r 0
v_accvgpr_read_b32 v7, acc115                      // glvw 5 mb 0 tt1 15 r 0
v_accvgpr_read_b32 v8, acc179                      // glvw 5 mb 0 tt1 15 r 0
s_nop 1                                            // v_accvgpr read vgpr after write vgpr: 2 wait states
ds_bpermute_b32 v5, v0, v5, offset:8               // permute edge values
ds_bpermute_b32 v6, v0, v6, offset:12              // permute edge values
ds_bpermute_b32 v7, v0, v7, offset:12              // permute edge values
	;; [unrolled: 1-line block ×3, first 2 shown]
s_waitcnt 0                                        // wait for swizzle operation
v_accvgpr_write_b32 acc51, v5                      // 
v_accvgpr_write_b32 acc115, v6                     // 
v_accvgpr_write_b32 acc179, v7                     // 
v_accvgpr_write_b32 acc243, v8                     // 
v_accvgpr_read_b32 v5, acc196                      // glvw 5 mb 0 tt1 16 r 0
v_accvgpr_read_b32 v6, acc4                        // glvw 5 mb 0 tt1 16 r 0
v_accvgpr_read_b32 v7, acc68                       // glvw 5 mb 0 tt1 16 r 0
v_accvgpr_read_b32 v8, acc132                      // glvw 5 mb 0 tt1 16 r 0
s_nop 1                                            // v_accvgpr read vgpr after write vgpr: 2 wait states
ds_bpermute_b32 v5, v0, v5, offset:8               // permute edge values
ds_bpermute_b32 v6, v0, v6, offset:12              // permute edge values
ds_bpermute_b32 v7, v0, v7, offset:12              // permute edge values
	;; [unrolled: 1-line block ×3, first 2 shown]
s_waitcnt 0                                        // wait for swizzle operation
v_accvgpr_write_b32 acc4, v5                       // 
v_accvgpr_write_b32 acc68, v6                      // 
v_accvgpr_write_b32 acc132, v7                     // 
v_accvgpr_write_b32 acc196, v8                     // 
v_accvgpr_read_b32 v5, acc212                      // glvw 5 mb 0 tt1 17 r 0
v_accvgpr_read_b32 v6, acc20                       // glvw 5 mb 0 tt1 17 r 0
v_accvgpr_read_b32 v7, acc84                       // glvw 5 mb 0 tt1 17 r 0
v_accvgpr_read_b32 v8, acc148                      // glvw 5 mb 0 tt1 17 r 0
s_nop 1                                            // v_accvgpr read vgpr after write vgpr: 2 wait states
ds_bpermute_b32 v5, v0, v5, offset:8               // permute edge values
ds_bpermute_b32 v6, v0, v6, offset:12              // permute edge values
ds_bpermute_b32 v7, v0, v7, offset:12              // permute edge values
	;; [unrolled: 1-line block ×3, first 2 shown]
s_waitcnt 0                                        // wait for swizzle operation
v_accvgpr_write_b32 acc20, v5                      // 
v_accvgpr_write_b32 acc84, v6                      // 
v_accvgpr_write_b32 acc148, v7                     // 
v_accvgpr_write_b32 acc212, v8                     // 
v_accvgpr_read_b32 v5, acc228                      // glvw 5 mb 0 tt1 18 r 0
v_accvgpr_read_b32 v6, acc36                       // glvw 5 mb 0 tt1 18 r 0
v_accvgpr_read_b32 v7, acc100                      // glvw 5 mb 0 tt1 18 r 0
v_accvgpr_read_b32 v8, acc164                      // glvw 5 mb 0 tt1 18 r 0
s_nop 1                                            // v_accvgpr read vgpr after write vgpr: 2 wait states
ds_bpermute_b32 v5, v0, v5, offset:8               // permute edge values
ds_bpermute_b32 v6, v0, v6, offset:12              // permute edge values
ds_bpermute_b32 v7, v0, v7, offset:12              // permute edge values
	;; [unrolled: 1-line block ×3, first 2 shown]
s_waitcnt 0                                        // wait for swizzle operation
v_accvgpr_write_b32 acc36, v5                      // 
v_accvgpr_write_b32 acc100, v6                     // 
v_accvgpr_write_b32 acc164, v7                     // 
v_accvgpr_write_b32 acc228, v8                     // 
v_accvgpr_read_b32 v5, acc244                      // glvw 5 mb 0 tt1 19 r 0
v_accvgpr_read_b32 v6, acc52                       // glvw 5 mb 0 tt1 19 r 0
v_accvgpr_read_b32 v7, acc116                      // glvw 5 mb 0 tt1 19 r 0
v_accvgpr_read_b32 v8, acc180                      // glvw 5 mb 0 tt1 19 r 0
s_nop 1                                            // v_accvgpr read vgpr after write vgpr: 2 wait states
ds_bpermute_b32 v5, v0, v5, offset:8               // permute edge values
ds_bpermute_b32 v6, v0, v6, offset:12              // permute edge values
ds_bpermute_b32 v7, v0, v7, offset:12              // permute edge values
	;; [unrolled: 1-line block ×3, first 2 shown]
s_waitcnt 0                                        // wait for swizzle operation
v_accvgpr_write_b32 acc52, v5                      // 
v_accvgpr_write_b32 acc116, v6                     // 
v_accvgpr_write_b32 acc180, v7                     // 
v_accvgpr_write_b32 acc244, v8                     // 
v_accvgpr_read_b32 v5, acc197                      // glvw 5 mb 0 tt1 20 r 0
v_accvgpr_read_b32 v6, acc5                        // glvw 5 mb 0 tt1 20 r 0
v_accvgpr_read_b32 v7, acc69                       // glvw 5 mb 0 tt1 20 r 0
v_accvgpr_read_b32 v8, acc133                      // glvw 5 mb 0 tt1 20 r 0
s_nop 1                                            // v_accvgpr read vgpr after write vgpr: 2 wait states
ds_bpermute_b32 v5, v0, v5, offset:8               // permute edge values
ds_bpermute_b32 v6, v0, v6, offset:12              // permute edge values
ds_bpermute_b32 v7, v0, v7, offset:12              // permute edge values
	;; [unrolled: 1-line block ×3, first 2 shown]
s_waitcnt 0                                        // wait for swizzle operation
v_accvgpr_write_b32 acc5, v5                       // 
v_accvgpr_write_b32 acc69, v6                      // 
v_accvgpr_write_b32 acc133, v7                     // 
v_accvgpr_write_b32 acc197, v8                     // 
v_accvgpr_read_b32 v5, acc213                      // glvw 5 mb 0 tt1 21 r 0
v_accvgpr_read_b32 v6, acc21                       // glvw 5 mb 0 tt1 21 r 0
v_accvgpr_read_b32 v7, acc85                       // glvw 5 mb 0 tt1 21 r 0
v_accvgpr_read_b32 v8, acc149                      // glvw 5 mb 0 tt1 21 r 0
s_nop 1                                            // v_accvgpr read vgpr after write vgpr: 2 wait states
ds_bpermute_b32 v5, v0, v5, offset:8               // permute edge values
ds_bpermute_b32 v6, v0, v6, offset:12              // permute edge values
ds_bpermute_b32 v7, v0, v7, offset:12              // permute edge values
	;; [unrolled: 1-line block ×3, first 2 shown]
s_waitcnt 0                                        // wait for swizzle operation
v_accvgpr_write_b32 acc21, v5                      // 
v_accvgpr_write_b32 acc85, v6                      // 
v_accvgpr_write_b32 acc149, v7                     // 
v_accvgpr_write_b32 acc213, v8                     // 
v_accvgpr_read_b32 v5, acc229                      // glvw 5 mb 0 tt1 22 r 0
v_accvgpr_read_b32 v6, acc37                       // glvw 5 mb 0 tt1 22 r 0
v_accvgpr_read_b32 v7, acc101                      // glvw 5 mb 0 tt1 22 r 0
v_accvgpr_read_b32 v8, acc165                      // glvw 5 mb 0 tt1 22 r 0
s_nop 1                                            // v_accvgpr read vgpr after write vgpr: 2 wait states
ds_bpermute_b32 v5, v0, v5, offset:8               // permute edge values
ds_bpermute_b32 v6, v0, v6, offset:12              // permute edge values
ds_bpermute_b32 v7, v0, v7, offset:12              // permute edge values
	;; [unrolled: 1-line block ×3, first 2 shown]
s_waitcnt 0                                        // wait for swizzle operation
v_accvgpr_write_b32 acc37, v5                      // 
v_accvgpr_write_b32 acc101, v6                     // 
v_accvgpr_write_b32 acc165, v7                     // 
v_accvgpr_write_b32 acc229, v8                     // 
v_accvgpr_read_b32 v5, acc245                      // glvw 5 mb 0 tt1 23 r 0
v_accvgpr_read_b32 v6, acc53                       // glvw 5 mb 0 tt1 23 r 0
v_accvgpr_read_b32 v7, acc117                      // glvw 5 mb 0 tt1 23 r 0
v_accvgpr_read_b32 v8, acc181                      // glvw 5 mb 0 tt1 23 r 0
s_nop 1                                            // v_accvgpr read vgpr after write vgpr: 2 wait states
ds_bpermute_b32 v5, v0, v5, offset:8               // permute edge values
ds_bpermute_b32 v6, v0, v6, offset:12              // permute edge values
ds_bpermute_b32 v7, v0, v7, offset:12              // permute edge values
	;; [unrolled: 1-line block ×3, first 2 shown]
s_waitcnt 0                                        // wait for swizzle operation
v_accvgpr_write_b32 acc53, v5                      // 
v_accvgpr_write_b32 acc117, v6                     // 
v_accvgpr_write_b32 acc181, v7                     // 
v_accvgpr_write_b32 acc245, v8                     // 
v_accvgpr_read_b32 v5, acc198                      // glvw 5 mb 0 tt1 24 r 0
v_accvgpr_read_b32 v6, acc6                        // glvw 5 mb 0 tt1 24 r 0
v_accvgpr_read_b32 v7, acc70                       // glvw 5 mb 0 tt1 24 r 0
v_accvgpr_read_b32 v8, acc134                      // glvw 5 mb 0 tt1 24 r 0
s_nop 1                                            // v_accvgpr read vgpr after write vgpr: 2 wait states
ds_bpermute_b32 v5, v0, v5, offset:8               // permute edge values
ds_bpermute_b32 v6, v0, v6, offset:12              // permute edge values
ds_bpermute_b32 v7, v0, v7, offset:12              // permute edge values
	;; [unrolled: 1-line block ×3, first 2 shown]
s_waitcnt 0                                        // wait for swizzle operation
v_accvgpr_write_b32 acc6, v5                       // 
v_accvgpr_write_b32 acc70, v6                      // 
v_accvgpr_write_b32 acc134, v7                     // 
v_accvgpr_write_b32 acc198, v8                     // 
v_accvgpr_read_b32 v5, acc214                      // glvw 5 mb 0 tt1 25 r 0
v_accvgpr_read_b32 v6, acc22                       // glvw 5 mb 0 tt1 25 r 0
v_accvgpr_read_b32 v7, acc86                       // glvw 5 mb 0 tt1 25 r 0
v_accvgpr_read_b32 v8, acc150                      // glvw 5 mb 0 tt1 25 r 0
s_nop 1                                            // v_accvgpr read vgpr after write vgpr: 2 wait states
ds_bpermute_b32 v5, v0, v5, offset:8               // permute edge values
ds_bpermute_b32 v6, v0, v6, offset:12              // permute edge values
ds_bpermute_b32 v7, v0, v7, offset:12              // permute edge values
	;; [unrolled: 1-line block ×3, first 2 shown]
s_waitcnt 0                                        // wait for swizzle operation
v_accvgpr_write_b32 acc22, v5                      // 
v_accvgpr_write_b32 acc86, v6                      // 
v_accvgpr_write_b32 acc150, v7                     // 
v_accvgpr_write_b32 acc214, v8                     // 
v_accvgpr_read_b32 v5, acc230                      // glvw 5 mb 0 tt1 26 r 0
v_accvgpr_read_b32 v6, acc38                       // glvw 5 mb 0 tt1 26 r 0
v_accvgpr_read_b32 v7, acc102                      // glvw 5 mb 0 tt1 26 r 0
v_accvgpr_read_b32 v8, acc166                      // glvw 5 mb 0 tt1 26 r 0
s_nop 1                                            // v_accvgpr read vgpr after write vgpr: 2 wait states
ds_bpermute_b32 v5, v0, v5, offset:8               // permute edge values
ds_bpermute_b32 v6, v0, v6, offset:12              // permute edge values
ds_bpermute_b32 v7, v0, v7, offset:12              // permute edge values
	;; [unrolled: 1-line block ×3, first 2 shown]
s_waitcnt 0                                        // wait for swizzle operation
v_accvgpr_write_b32 acc38, v5                      // 
v_accvgpr_write_b32 acc102, v6                     // 
v_accvgpr_write_b32 acc166, v7                     // 
v_accvgpr_write_b32 acc230, v8                     // 
v_accvgpr_read_b32 v5, acc246                      // glvw 5 mb 0 tt1 27 r 0
v_accvgpr_read_b32 v6, acc54                       // glvw 5 mb 0 tt1 27 r 0
v_accvgpr_read_b32 v7, acc118                      // glvw 5 mb 0 tt1 27 r 0
v_accvgpr_read_b32 v8, acc182                      // glvw 5 mb 0 tt1 27 r 0
s_nop 1                                            // v_accvgpr read vgpr after write vgpr: 2 wait states
ds_bpermute_b32 v5, v0, v5, offset:8               // permute edge values
ds_bpermute_b32 v6, v0, v6, offset:12              // permute edge values
ds_bpermute_b32 v7, v0, v7, offset:12              // permute edge values
	;; [unrolled: 1-line block ×3, first 2 shown]
s_waitcnt 0                                        // wait for swizzle operation
v_accvgpr_write_b32 acc54, v5                      // 
v_accvgpr_write_b32 acc118, v6                     // 
v_accvgpr_write_b32 acc182, v7                     // 
v_accvgpr_write_b32 acc246, v8                     // 
v_accvgpr_read_b32 v5, acc199                      // glvw 5 mb 0 tt1 28 r 0
v_accvgpr_read_b32 v6, acc7                        // glvw 5 mb 0 tt1 28 r 0
v_accvgpr_read_b32 v7, acc71                       // glvw 5 mb 0 tt1 28 r 0
v_accvgpr_read_b32 v8, acc135                      // glvw 5 mb 0 tt1 28 r 0
s_nop 1                                            // v_accvgpr read vgpr after write vgpr: 2 wait states
ds_bpermute_b32 v5, v0, v5, offset:8               // permute edge values
ds_bpermute_b32 v6, v0, v6, offset:12              // permute edge values
ds_bpermute_b32 v7, v0, v7, offset:12              // permute edge values
	;; [unrolled: 1-line block ×3, first 2 shown]
s_waitcnt 0                                        // wait for swizzle operation
v_accvgpr_write_b32 acc7, v5                       // 
v_accvgpr_write_b32 acc71, v6                      // 
v_accvgpr_write_b32 acc135, v7                     // 
v_accvgpr_write_b32 acc199, v8                     // 
v_accvgpr_read_b32 v5, acc215                      // glvw 5 mb 0 tt1 29 r 0
v_accvgpr_read_b32 v6, acc23                       // glvw 5 mb 0 tt1 29 r 0
v_accvgpr_read_b32 v7, acc87                       // glvw 5 mb 0 tt1 29 r 0
v_accvgpr_read_b32 v8, acc151                      // glvw 5 mb 0 tt1 29 r 0
s_nop 1                                            // v_accvgpr read vgpr after write vgpr: 2 wait states
ds_bpermute_b32 v5, v0, v5, offset:8               // permute edge values
ds_bpermute_b32 v6, v0, v6, offset:12              // permute edge values
ds_bpermute_b32 v7, v0, v7, offset:12              // permute edge values
	;; [unrolled: 1-line block ×3, first 2 shown]
s_waitcnt 0                                        // wait for swizzle operation
v_accvgpr_write_b32 acc23, v5                      // 
v_accvgpr_write_b32 acc87, v6                      // 
v_accvgpr_write_b32 acc151, v7                     // 
v_accvgpr_write_b32 acc215, v8                     // 
v_accvgpr_read_b32 v5, acc231                      // glvw 5 mb 0 tt1 30 r 0
v_accvgpr_read_b32 v6, acc39                       // glvw 5 mb 0 tt1 30 r 0
v_accvgpr_read_b32 v7, acc103                      // glvw 5 mb 0 tt1 30 r 0
v_accvgpr_read_b32 v8, acc167                      // glvw 5 mb 0 tt1 30 r 0
s_nop 1                                            // v_accvgpr read vgpr after write vgpr: 2 wait states
ds_bpermute_b32 v5, v0, v5, offset:8               // permute edge values
ds_bpermute_b32 v6, v0, v6, offset:12              // permute edge values
ds_bpermute_b32 v7, v0, v7, offset:12              // permute edge values
	;; [unrolled: 1-line block ×3, first 2 shown]
s_waitcnt 0                                        // wait for swizzle operation
v_accvgpr_write_b32 acc39, v5                      // 
v_accvgpr_write_b32 acc103, v6                     // 
v_accvgpr_write_b32 acc167, v7                     // 
v_accvgpr_write_b32 acc231, v8                     // 
v_accvgpr_read_b32 v5, acc247                      // glvw 5 mb 0 tt1 31 r 0
v_accvgpr_read_b32 v6, acc55                       // glvw 5 mb 0 tt1 31 r 0
v_accvgpr_read_b32 v7, acc119                      // glvw 5 mb 0 tt1 31 r 0
v_accvgpr_read_b32 v8, acc183                      // glvw 5 mb 0 tt1 31 r 0
s_nop 1                                            // v_accvgpr read vgpr after write vgpr: 2 wait states
ds_bpermute_b32 v5, v0, v5, offset:8               // permute edge values
ds_bpermute_b32 v6, v0, v6, offset:12              // permute edge values
ds_bpermute_b32 v7, v0, v7, offset:12              // permute edge values
	;; [unrolled: 1-line block ×3, first 2 shown]
s_waitcnt 0                                        // wait for swizzle operation
v_accvgpr_write_b32 acc55, v5                      // 
v_accvgpr_write_b32 acc119, v6                     // 
v_accvgpr_write_b32 acc183, v7                     // 
v_accvgpr_write_b32 acc247, v8                     // 
v_accvgpr_read_b32 v5, acc200                      // glvw 5 mb 0 tt1 32 r 0
v_accvgpr_read_b32 v6, acc8                        // glvw 5 mb 0 tt1 32 r 0
v_accvgpr_read_b32 v7, acc72                       // glvw 5 mb 0 tt1 32 r 0
v_accvgpr_read_b32 v8, acc136                      // glvw 5 mb 0 tt1 32 r 0
s_nop 1                                            // v_accvgpr read vgpr after write vgpr: 2 wait states
ds_bpermute_b32 v5, v0, v5, offset:8               // permute edge values
ds_bpermute_b32 v6, v0, v6, offset:12              // permute edge values
ds_bpermute_b32 v7, v0, v7, offset:12              // permute edge values
ds_bpermute_b32 v8, v0, v8, offset:12              // permute edge values
s_waitcnt 0                                        // wait for swizzle operation
v_accvgpr_write_b32 acc8, v5                       // 
v_accvgpr_write_b32 acc72, v6                      // 
v_accvgpr_write_b32 acc136, v7                     // 
v_accvgpr_write_b32 acc200, v8                     // 
v_accvgpr_read_b32 v5, acc216                      // glvw 5 mb 0 tt1 33 r 0
v_accvgpr_read_b32 v6, acc24                       // glvw 5 mb 0 tt1 33 r 0
v_accvgpr_read_b32 v7, acc88                       // glvw 5 mb 0 tt1 33 r 0
v_accvgpr_read_b32 v8, acc152                      // glvw 5 mb 0 tt1 33 r 0
s_nop 1                                            // v_accvgpr read vgpr after write vgpr: 2 wait states
ds_bpermute_b32 v5, v0, v5, offset:8               // permute edge values
ds_bpermute_b32 v6, v0, v6, offset:12              // permute edge values
ds_bpermute_b32 v7, v0, v7, offset:12              // permute edge values
	;; [unrolled: 1-line block ×3, first 2 shown]
s_waitcnt 0                                        // wait for swizzle operation
v_accvgpr_write_b32 acc24, v5                      // 
v_accvgpr_write_b32 acc88, v6                      // 
v_accvgpr_write_b32 acc152, v7                     // 
v_accvgpr_write_b32 acc216, v8                     // 
v_accvgpr_read_b32 v5, acc232                      // glvw 5 mb 0 tt1 34 r 0
v_accvgpr_read_b32 v6, acc40                       // glvw 5 mb 0 tt1 34 r 0
v_accvgpr_read_b32 v7, acc104                      // glvw 5 mb 0 tt1 34 r 0
v_accvgpr_read_b32 v8, acc168                      // glvw 5 mb 0 tt1 34 r 0
s_nop 1                                            // v_accvgpr read vgpr after write vgpr: 2 wait states
ds_bpermute_b32 v5, v0, v5, offset:8               // permute edge values
ds_bpermute_b32 v6, v0, v6, offset:12              // permute edge values
ds_bpermute_b32 v7, v0, v7, offset:12              // permute edge values
ds_bpermute_b32 v8, v0, v8, offset:12              // permute edge values
s_waitcnt 0                                        // wait for swizzle operation
v_accvgpr_write_b32 acc40, v5                      // 
v_accvgpr_write_b32 acc104, v6                     // 
v_accvgpr_write_b32 acc168, v7                     // 
v_accvgpr_write_b32 acc232, v8                     // 
v_accvgpr_read_b32 v5, acc248                      // glvw 5 mb 0 tt1 35 r 0
v_accvgpr_read_b32 v6, acc56                       // glvw 5 mb 0 tt1 35 r 0
v_accvgpr_read_b32 v7, acc120                      // glvw 5 mb 0 tt1 35 r 0
v_accvgpr_read_b32 v8, acc184                      // glvw 5 mb 0 tt1 35 r 0
s_nop 1                                            // v_accvgpr read vgpr after write vgpr: 2 wait states
ds_bpermute_b32 v5, v0, v5, offset:8               // permute edge values
ds_bpermute_b32 v6, v0, v6, offset:12              // permute edge values
ds_bpermute_b32 v7, v0, v7, offset:12              // permute edge values
	;; [unrolled: 1-line block ×3, first 2 shown]
s_waitcnt 0                                        // wait for swizzle operation
v_accvgpr_write_b32 acc56, v5                      // 
v_accvgpr_write_b32 acc120, v6                     // 
v_accvgpr_write_b32 acc184, v7                     // 
v_accvgpr_write_b32 acc248, v8                     // 
v_accvgpr_read_b32 v5, acc201                      // glvw 5 mb 0 tt1 36 r 0
v_accvgpr_read_b32 v6, acc9                        // glvw 5 mb 0 tt1 36 r 0
v_accvgpr_read_b32 v7, acc73                       // glvw 5 mb 0 tt1 36 r 0
v_accvgpr_read_b32 v8, acc137                      // glvw 5 mb 0 tt1 36 r 0
s_nop 1                                            // v_accvgpr read vgpr after write vgpr: 2 wait states
ds_bpermute_b32 v5, v0, v5, offset:8               // permute edge values
ds_bpermute_b32 v6, v0, v6, offset:12              // permute edge values
ds_bpermute_b32 v7, v0, v7, offset:12              // permute edge values
	;; [unrolled: 1-line block ×3, first 2 shown]
s_waitcnt 0                                        // wait for swizzle operation
v_accvgpr_write_b32 acc9, v5                       // 
v_accvgpr_write_b32 acc73, v6                      // 
v_accvgpr_write_b32 acc137, v7                     // 
v_accvgpr_write_b32 acc201, v8                     // 
v_accvgpr_read_b32 v5, acc217                      // glvw 5 mb 0 tt1 37 r 0
v_accvgpr_read_b32 v6, acc25                       // glvw 5 mb 0 tt1 37 r 0
v_accvgpr_read_b32 v7, acc89                       // glvw 5 mb 0 tt1 37 r 0
v_accvgpr_read_b32 v8, acc153                      // glvw 5 mb 0 tt1 37 r 0
s_nop 1                                            // v_accvgpr read vgpr after write vgpr: 2 wait states
ds_bpermute_b32 v5, v0, v5, offset:8               // permute edge values
ds_bpermute_b32 v6, v0, v6, offset:12              // permute edge values
ds_bpermute_b32 v7, v0, v7, offset:12              // permute edge values
	;; [unrolled: 1-line block ×3, first 2 shown]
s_waitcnt 0                                        // wait for swizzle operation
v_accvgpr_write_b32 acc25, v5                      // 
v_accvgpr_write_b32 acc89, v6                      // 
v_accvgpr_write_b32 acc153, v7                     // 
v_accvgpr_write_b32 acc217, v8                     // 
v_accvgpr_read_b32 v5, acc233                      // glvw 5 mb 0 tt1 38 r 0
v_accvgpr_read_b32 v6, acc41                       // glvw 5 mb 0 tt1 38 r 0
v_accvgpr_read_b32 v7, acc105                      // glvw 5 mb 0 tt1 38 r 0
v_accvgpr_read_b32 v8, acc169                      // glvw 5 mb 0 tt1 38 r 0
s_nop 1                                            // v_accvgpr read vgpr after write vgpr: 2 wait states
ds_bpermute_b32 v5, v0, v5, offset:8               // permute edge values
ds_bpermute_b32 v6, v0, v6, offset:12              // permute edge values
ds_bpermute_b32 v7, v0, v7, offset:12              // permute edge values
ds_bpermute_b32 v8, v0, v8, offset:12              // permute edge values
s_waitcnt 0                                        // wait for swizzle operation
v_accvgpr_write_b32 acc41, v5                      // 
v_accvgpr_write_b32 acc105, v6                     // 
v_accvgpr_write_b32 acc169, v7                     // 
v_accvgpr_write_b32 acc233, v8                     // 
v_accvgpr_read_b32 v5, acc249                      // glvw 5 mb 0 tt1 39 r 0
v_accvgpr_read_b32 v6, acc57                       // glvw 5 mb 0 tt1 39 r 0
v_accvgpr_read_b32 v7, acc121                      // glvw 5 mb 0 tt1 39 r 0
v_accvgpr_read_b32 v8, acc185                      // glvw 5 mb 0 tt1 39 r 0
s_nop 1                                            // v_accvgpr read vgpr after write vgpr: 2 wait states
ds_bpermute_b32 v5, v0, v5, offset:8               // permute edge values
ds_bpermute_b32 v6, v0, v6, offset:12              // permute edge values
ds_bpermute_b32 v7, v0, v7, offset:12              // permute edge values
	;; [unrolled: 1-line block ×3, first 2 shown]
s_waitcnt 0                                        // wait for swizzle operation
v_accvgpr_write_b32 acc57, v5                      // 
v_accvgpr_write_b32 acc121, v6                     // 
v_accvgpr_write_b32 acc185, v7                     // 
v_accvgpr_write_b32 acc249, v8                     // 
v_accvgpr_read_b32 v5, acc202                      // glvw 5 mb 0 tt1 40 r 0
v_accvgpr_read_b32 v6, acc10                       // glvw 5 mb 0 tt1 40 r 0
v_accvgpr_read_b32 v7, acc74                       // glvw 5 mb 0 tt1 40 r 0
v_accvgpr_read_b32 v8, acc138                      // glvw 5 mb 0 tt1 40 r 0
s_nop 1                                            // v_accvgpr read vgpr after write vgpr: 2 wait states
ds_bpermute_b32 v5, v0, v5, offset:8               // permute edge values
ds_bpermute_b32 v6, v0, v6, offset:12              // permute edge values
ds_bpermute_b32 v7, v0, v7, offset:12              // permute edge values
	;; [unrolled: 1-line block ×3, first 2 shown]
s_waitcnt 0                                        // wait for swizzle operation
v_accvgpr_write_b32 acc10, v5                      // 
v_accvgpr_write_b32 acc74, v6                      // 
v_accvgpr_write_b32 acc138, v7                     // 
v_accvgpr_write_b32 acc202, v8                     // 
v_accvgpr_read_b32 v5, acc218                      // glvw 5 mb 0 tt1 41 r 0
v_accvgpr_read_b32 v6, acc26                       // glvw 5 mb 0 tt1 41 r 0
v_accvgpr_read_b32 v7, acc90                       // glvw 5 mb 0 tt1 41 r 0
v_accvgpr_read_b32 v8, acc154                      // glvw 5 mb 0 tt1 41 r 0
s_nop 1                                            // v_accvgpr read vgpr after write vgpr: 2 wait states
ds_bpermute_b32 v5, v0, v5, offset:8               // permute edge values
ds_bpermute_b32 v6, v0, v6, offset:12              // permute edge values
ds_bpermute_b32 v7, v0, v7, offset:12              // permute edge values
	;; [unrolled: 1-line block ×3, first 2 shown]
s_waitcnt 0                                        // wait for swizzle operation
v_accvgpr_write_b32 acc26, v5                      // 
v_accvgpr_write_b32 acc90, v6                      // 
v_accvgpr_write_b32 acc154, v7                     // 
v_accvgpr_write_b32 acc218, v8                     // 
v_accvgpr_read_b32 v5, acc234                      // glvw 5 mb 0 tt1 42 r 0
v_accvgpr_read_b32 v6, acc42                       // glvw 5 mb 0 tt1 42 r 0
v_accvgpr_read_b32 v7, acc106                      // glvw 5 mb 0 tt1 42 r 0
v_accvgpr_read_b32 v8, acc170                      // glvw 5 mb 0 tt1 42 r 0
s_nop 1                                            // v_accvgpr read vgpr after write vgpr: 2 wait states
ds_bpermute_b32 v5, v0, v5, offset:8               // permute edge values
ds_bpermute_b32 v6, v0, v6, offset:12              // permute edge values
ds_bpermute_b32 v7, v0, v7, offset:12              // permute edge values
	;; [unrolled: 1-line block ×3, first 2 shown]
s_waitcnt 0                                        // wait for swizzle operation
v_accvgpr_write_b32 acc42, v5                      // 
v_accvgpr_write_b32 acc106, v6                     // 
v_accvgpr_write_b32 acc170, v7                     // 
v_accvgpr_write_b32 acc234, v8                     // 
v_accvgpr_read_b32 v5, acc250                      // glvw 5 mb 0 tt1 43 r 0
v_accvgpr_read_b32 v6, acc58                       // glvw 5 mb 0 tt1 43 r 0
v_accvgpr_read_b32 v7, acc122                      // glvw 5 mb 0 tt1 43 r 0
v_accvgpr_read_b32 v8, acc186                      // glvw 5 mb 0 tt1 43 r 0
s_nop 1                                            // v_accvgpr read vgpr after write vgpr: 2 wait states
ds_bpermute_b32 v5, v0, v5, offset:8               // permute edge values
ds_bpermute_b32 v6, v0, v6, offset:12              // permute edge values
ds_bpermute_b32 v7, v0, v7, offset:12              // permute edge values
	;; [unrolled: 1-line block ×3, first 2 shown]
s_waitcnt 0                                        // wait for swizzle operation
v_accvgpr_write_b32 acc58, v5                      // 
v_accvgpr_write_b32 acc122, v6                     // 
v_accvgpr_write_b32 acc186, v7                     // 
v_accvgpr_write_b32 acc250, v8                     // 
v_accvgpr_read_b32 v5, acc203                      // glvw 5 mb 0 tt1 44 r 0
v_accvgpr_read_b32 v6, acc11                       // glvw 5 mb 0 tt1 44 r 0
v_accvgpr_read_b32 v7, acc75                       // glvw 5 mb 0 tt1 44 r 0
v_accvgpr_read_b32 v8, acc139                      // glvw 5 mb 0 tt1 44 r 0
s_nop 1                                            // v_accvgpr read vgpr after write vgpr: 2 wait states
ds_bpermute_b32 v5, v0, v5, offset:8               // permute edge values
ds_bpermute_b32 v6, v0, v6, offset:12              // permute edge values
ds_bpermute_b32 v7, v0, v7, offset:12              // permute edge values
	;; [unrolled: 1-line block ×3, first 2 shown]
s_waitcnt 0                                        // wait for swizzle operation
v_accvgpr_write_b32 acc11, v5                      // 
v_accvgpr_write_b32 acc75, v6                      // 
v_accvgpr_write_b32 acc139, v7                     // 
v_accvgpr_write_b32 acc203, v8                     // 
v_accvgpr_read_b32 v5, acc219                      // glvw 5 mb 0 tt1 45 r 0
v_accvgpr_read_b32 v6, acc27                       // glvw 5 mb 0 tt1 45 r 0
v_accvgpr_read_b32 v7, acc91                       // glvw 5 mb 0 tt1 45 r 0
v_accvgpr_read_b32 v8, acc155                      // glvw 5 mb 0 tt1 45 r 0
s_nop 1                                            // v_accvgpr read vgpr after write vgpr: 2 wait states
ds_bpermute_b32 v5, v0, v5, offset:8               // permute edge values
ds_bpermute_b32 v6, v0, v6, offset:12              // permute edge values
ds_bpermute_b32 v7, v0, v7, offset:12              // permute edge values
	;; [unrolled: 1-line block ×3, first 2 shown]
s_waitcnt 0                                        // wait for swizzle operation
v_accvgpr_write_b32 acc27, v5                      // 
v_accvgpr_write_b32 acc91, v6                      // 
v_accvgpr_write_b32 acc155, v7                     // 
v_accvgpr_write_b32 acc219, v8                     // 
v_accvgpr_read_b32 v5, acc235                      // glvw 5 mb 0 tt1 46 r 0
v_accvgpr_read_b32 v6, acc43                       // glvw 5 mb 0 tt1 46 r 0
v_accvgpr_read_b32 v7, acc107                      // glvw 5 mb 0 tt1 46 r 0
v_accvgpr_read_b32 v8, acc171                      // glvw 5 mb 0 tt1 46 r 0
s_nop 1                                            // v_accvgpr read vgpr after write vgpr: 2 wait states
ds_bpermute_b32 v5, v0, v5, offset:8               // permute edge values
ds_bpermute_b32 v6, v0, v6, offset:12              // permute edge values
ds_bpermute_b32 v7, v0, v7, offset:12              // permute edge values
	;; [unrolled: 1-line block ×3, first 2 shown]
s_waitcnt 0                                        // wait for swizzle operation
v_accvgpr_write_b32 acc43, v5                      // 
v_accvgpr_write_b32 acc107, v6                     // 
v_accvgpr_write_b32 acc171, v7                     // 
v_accvgpr_write_b32 acc235, v8                     // 
v_accvgpr_read_b32 v5, acc251                      // glvw 5 mb 0 tt1 47 r 0
v_accvgpr_read_b32 v6, acc59                       // glvw 5 mb 0 tt1 47 r 0
v_accvgpr_read_b32 v7, acc123                      // glvw 5 mb 0 tt1 47 r 0
v_accvgpr_read_b32 v8, acc187                      // glvw 5 mb 0 tt1 47 r 0
s_nop 1                                            // v_accvgpr read vgpr after write vgpr: 2 wait states
ds_bpermute_b32 v5, v0, v5, offset:8               // permute edge values
ds_bpermute_b32 v6, v0, v6, offset:12              // permute edge values
ds_bpermute_b32 v7, v0, v7, offset:12              // permute edge values
	;; [unrolled: 1-line block ×3, first 2 shown]
s_waitcnt 0                                        // wait for swizzle operation
v_accvgpr_write_b32 acc59, v5                      // 
v_accvgpr_write_b32 acc123, v6                     // 
v_accvgpr_write_b32 acc187, v7                     // 
v_accvgpr_write_b32 acc251, v8                     // 
v_accvgpr_read_b32 v5, acc204                      // glvw 5 mb 0 tt1 48 r 0
v_accvgpr_read_b32 v6, acc12                       // glvw 5 mb 0 tt1 48 r 0
v_accvgpr_read_b32 v7, acc76                       // glvw 5 mb 0 tt1 48 r 0
v_accvgpr_read_b32 v8, acc140                      // glvw 5 mb 0 tt1 48 r 0
s_nop 1                                            // v_accvgpr read vgpr after write vgpr: 2 wait states
ds_bpermute_b32 v5, v0, v5, offset:8               // permute edge values
ds_bpermute_b32 v6, v0, v6, offset:12              // permute edge values
ds_bpermute_b32 v7, v0, v7, offset:12              // permute edge values
	;; [unrolled: 1-line block ×3, first 2 shown]
s_waitcnt 0                                        // wait for swizzle operation
v_accvgpr_write_b32 acc12, v5                      // 
v_accvgpr_write_b32 acc76, v6                      // 
v_accvgpr_write_b32 acc140, v7                     // 
v_accvgpr_write_b32 acc204, v8                     // 
v_accvgpr_read_b32 v5, acc220                      // glvw 5 mb 0 tt1 49 r 0
v_accvgpr_read_b32 v6, acc28                       // glvw 5 mb 0 tt1 49 r 0
v_accvgpr_read_b32 v7, acc92                       // glvw 5 mb 0 tt1 49 r 0
v_accvgpr_read_b32 v8, acc156                      // glvw 5 mb 0 tt1 49 r 0
s_nop 1                                            // v_accvgpr read vgpr after write vgpr: 2 wait states
ds_bpermute_b32 v5, v0, v5, offset:8               // permute edge values
ds_bpermute_b32 v6, v0, v6, offset:12              // permute edge values
ds_bpermute_b32 v7, v0, v7, offset:12              // permute edge values
	;; [unrolled: 1-line block ×3, first 2 shown]
s_waitcnt 0                                        // wait for swizzle operation
v_accvgpr_write_b32 acc28, v5                      // 
v_accvgpr_write_b32 acc92, v6                      // 
v_accvgpr_write_b32 acc156, v7                     // 
v_accvgpr_write_b32 acc220, v8                     // 
v_accvgpr_read_b32 v5, acc236                      // glvw 5 mb 0 tt1 50 r 0
v_accvgpr_read_b32 v6, acc44                       // glvw 5 mb 0 tt1 50 r 0
v_accvgpr_read_b32 v7, acc108                      // glvw 5 mb 0 tt1 50 r 0
v_accvgpr_read_b32 v8, acc172                      // glvw 5 mb 0 tt1 50 r 0
s_nop 1                                            // v_accvgpr read vgpr after write vgpr: 2 wait states
ds_bpermute_b32 v5, v0, v5, offset:8               // permute edge values
ds_bpermute_b32 v6, v0, v6, offset:12              // permute edge values
ds_bpermute_b32 v7, v0, v7, offset:12              // permute edge values
	;; [unrolled: 1-line block ×3, first 2 shown]
s_waitcnt 0                                        // wait for swizzle operation
v_accvgpr_write_b32 acc44, v5                      // 
v_accvgpr_write_b32 acc108, v6                     // 
v_accvgpr_write_b32 acc172, v7                     // 
v_accvgpr_write_b32 acc236, v8                     // 
v_accvgpr_read_b32 v5, acc252                      // glvw 5 mb 0 tt1 51 r 0
v_accvgpr_read_b32 v6, acc60                       // glvw 5 mb 0 tt1 51 r 0
v_accvgpr_read_b32 v7, acc124                      // glvw 5 mb 0 tt1 51 r 0
v_accvgpr_read_b32 v8, acc188                      // glvw 5 mb 0 tt1 51 r 0
s_nop 1                                            // v_accvgpr read vgpr after write vgpr: 2 wait states
ds_bpermute_b32 v5, v0, v5, offset:8               // permute edge values
ds_bpermute_b32 v6, v0, v6, offset:12              // permute edge values
ds_bpermute_b32 v7, v0, v7, offset:12              // permute edge values
ds_bpermute_b32 v8, v0, v8, offset:12              // permute edge values
s_waitcnt 0                                        // wait for swizzle operation
v_accvgpr_write_b32 acc60, v5                      // 
v_accvgpr_write_b32 acc124, v6                     // 
v_accvgpr_write_b32 acc188, v7                     // 
v_accvgpr_write_b32 acc252, v8                     // 
v_accvgpr_read_b32 v5, acc205                      // glvw 5 mb 0 tt1 52 r 0
v_accvgpr_read_b32 v6, acc13                       // glvw 5 mb 0 tt1 52 r 0
v_accvgpr_read_b32 v7, acc77                       // glvw 5 mb 0 tt1 52 r 0
v_accvgpr_read_b32 v8, acc141                      // glvw 5 mb 0 tt1 52 r 0
s_nop 1                                            // v_accvgpr read vgpr after write vgpr: 2 wait states
ds_bpermute_b32 v5, v0, v5, offset:8               // permute edge values
ds_bpermute_b32 v6, v0, v6, offset:12              // permute edge values
ds_bpermute_b32 v7, v0, v7, offset:12              // permute edge values
	;; [unrolled: 1-line block ×3, first 2 shown]
s_waitcnt 0                                        // wait for swizzle operation
v_accvgpr_write_b32 acc13, v5                      // 
v_accvgpr_write_b32 acc77, v6                      // 
v_accvgpr_write_b32 acc141, v7                     // 
v_accvgpr_write_b32 acc205, v8                     // 
v_accvgpr_read_b32 v5, acc221                      // glvw 5 mb 0 tt1 53 r 0
v_accvgpr_read_b32 v6, acc29                       // glvw 5 mb 0 tt1 53 r 0
v_accvgpr_read_b32 v7, acc93                       // glvw 5 mb 0 tt1 53 r 0
v_accvgpr_read_b32 v8, acc157                      // glvw 5 mb 0 tt1 53 r 0
s_nop 1                                            // v_accvgpr read vgpr after write vgpr: 2 wait states
ds_bpermute_b32 v5, v0, v5, offset:8               // permute edge values
ds_bpermute_b32 v6, v0, v6, offset:12              // permute edge values
ds_bpermute_b32 v7, v0, v7, offset:12              // permute edge values
	;; [unrolled: 1-line block ×3, first 2 shown]
s_waitcnt 0                                        // wait for swizzle operation
v_accvgpr_write_b32 acc29, v5                      // 
v_accvgpr_write_b32 acc93, v6                      // 
v_accvgpr_write_b32 acc157, v7                     // 
v_accvgpr_write_b32 acc221, v8                     // 
v_accvgpr_read_b32 v5, acc237                      // glvw 5 mb 0 tt1 54 r 0
v_accvgpr_read_b32 v6, acc45                       // glvw 5 mb 0 tt1 54 r 0
v_accvgpr_read_b32 v7, acc109                      // glvw 5 mb 0 tt1 54 r 0
v_accvgpr_read_b32 v8, acc173                      // glvw 5 mb 0 tt1 54 r 0
s_nop 1                                            // v_accvgpr read vgpr after write vgpr: 2 wait states
ds_bpermute_b32 v5, v0, v5, offset:8               // permute edge values
ds_bpermute_b32 v6, v0, v6, offset:12              // permute edge values
ds_bpermute_b32 v7, v0, v7, offset:12              // permute edge values
	;; [unrolled: 1-line block ×3, first 2 shown]
s_waitcnt 0                                        // wait for swizzle operation
v_accvgpr_write_b32 acc45, v5                      // 
v_accvgpr_write_b32 acc109, v6                     // 
v_accvgpr_write_b32 acc173, v7                     // 
v_accvgpr_write_b32 acc237, v8                     // 
v_accvgpr_read_b32 v5, acc253                      // glvw 5 mb 0 tt1 55 r 0
v_accvgpr_read_b32 v6, acc61                       // glvw 5 mb 0 tt1 55 r 0
v_accvgpr_read_b32 v7, acc125                      // glvw 5 mb 0 tt1 55 r 0
v_accvgpr_read_b32 v8, acc189                      // glvw 5 mb 0 tt1 55 r 0
s_nop 1                                            // v_accvgpr read vgpr after write vgpr: 2 wait states
ds_bpermute_b32 v5, v0, v5, offset:8               // permute edge values
ds_bpermute_b32 v6, v0, v6, offset:12              // permute edge values
ds_bpermute_b32 v7, v0, v7, offset:12              // permute edge values
ds_bpermute_b32 v8, v0, v8, offset:12              // permute edge values
s_waitcnt 0                                        // wait for swizzle operation
v_accvgpr_write_b32 acc61, v5                      // 
v_accvgpr_write_b32 acc125, v6                     // 
v_accvgpr_write_b32 acc189, v7                     // 
v_accvgpr_write_b32 acc253, v8                     // 
v_accvgpr_read_b32 v5, acc206                      // glvw 5 mb 0 tt1 56 r 0
v_accvgpr_read_b32 v6, acc14                       // glvw 5 mb 0 tt1 56 r 0
v_accvgpr_read_b32 v7, acc78                       // glvw 5 mb 0 tt1 56 r 0
v_accvgpr_read_b32 v8, acc142                      // glvw 5 mb 0 tt1 56 r 0
s_nop 1                                            // v_accvgpr read vgpr after write vgpr: 2 wait states
ds_bpermute_b32 v5, v0, v5, offset:8               // permute edge values
ds_bpermute_b32 v6, v0, v6, offset:12              // permute edge values
ds_bpermute_b32 v7, v0, v7, offset:12              // permute edge values
	;; [unrolled: 1-line block ×3, first 2 shown]
s_waitcnt 0                                        // wait for swizzle operation
v_accvgpr_write_b32 acc14, v5                      // 
v_accvgpr_write_b32 acc78, v6                      // 
v_accvgpr_write_b32 acc142, v7                     // 
v_accvgpr_write_b32 acc206, v8                     // 
v_accvgpr_read_b32 v5, acc222                      // glvw 5 mb 0 tt1 57 r 0
v_accvgpr_read_b32 v6, acc30                       // glvw 5 mb 0 tt1 57 r 0
v_accvgpr_read_b32 v7, acc94                       // glvw 5 mb 0 tt1 57 r 0
v_accvgpr_read_b32 v8, acc158                      // glvw 5 mb 0 tt1 57 r 0
s_nop 1                                            // v_accvgpr read vgpr after write vgpr: 2 wait states
ds_bpermute_b32 v5, v0, v5, offset:8               // permute edge values
ds_bpermute_b32 v6, v0, v6, offset:12              // permute edge values
ds_bpermute_b32 v7, v0, v7, offset:12              // permute edge values
	;; [unrolled: 1-line block ×3, first 2 shown]
s_waitcnt 0                                        // wait for swizzle operation
v_accvgpr_write_b32 acc30, v5                      // 
v_accvgpr_write_b32 acc94, v6                      // 
v_accvgpr_write_b32 acc158, v7                     // 
v_accvgpr_write_b32 acc222, v8                     // 
v_accvgpr_read_b32 v5, acc238                      // glvw 5 mb 0 tt1 58 r 0
v_accvgpr_read_b32 v6, acc46                       // glvw 5 mb 0 tt1 58 r 0
v_accvgpr_read_b32 v7, acc110                      // glvw 5 mb 0 tt1 58 r 0
v_accvgpr_read_b32 v8, acc174                      // glvw 5 mb 0 tt1 58 r 0
s_nop 1                                            // v_accvgpr read vgpr after write vgpr: 2 wait states
ds_bpermute_b32 v5, v0, v5, offset:8               // permute edge values
ds_bpermute_b32 v6, v0, v6, offset:12              // permute edge values
ds_bpermute_b32 v7, v0, v7, offset:12              // permute edge values
	;; [unrolled: 1-line block ×3, first 2 shown]
s_waitcnt 0                                        // wait for swizzle operation
v_accvgpr_write_b32 acc46, v5                      // 
v_accvgpr_write_b32 acc110, v6                     // 
v_accvgpr_write_b32 acc174, v7                     // 
v_accvgpr_write_b32 acc238, v8                     // 
v_accvgpr_read_b32 v5, acc254                      // glvw 5 mb 0 tt1 59 r 0
v_accvgpr_read_b32 v6, acc62                       // glvw 5 mb 0 tt1 59 r 0
v_accvgpr_read_b32 v7, acc126                      // glvw 5 mb 0 tt1 59 r 0
v_accvgpr_read_b32 v8, acc190                      // glvw 5 mb 0 tt1 59 r 0
s_nop 1                                            // v_accvgpr read vgpr after write vgpr: 2 wait states
ds_bpermute_b32 v5, v0, v5, offset:8               // permute edge values
ds_bpermute_b32 v6, v0, v6, offset:12              // permute edge values
ds_bpermute_b32 v7, v0, v7, offset:12              // permute edge values
	;; [unrolled: 1-line block ×3, first 2 shown]
s_waitcnt 0                                        // wait for swizzle operation
v_accvgpr_write_b32 acc62, v5                      // 
v_accvgpr_write_b32 acc126, v6                     // 
v_accvgpr_write_b32 acc190, v7                     // 
v_accvgpr_write_b32 acc254, v8                     // 
v_accvgpr_read_b32 v5, acc207                      // glvw 5 mb 0 tt1 60 r 0
v_accvgpr_read_b32 v6, acc15                       // glvw 5 mb 0 tt1 60 r 0
v_accvgpr_read_b32 v7, acc79                       // glvw 5 mb 0 tt1 60 r 0
v_accvgpr_read_b32 v8, acc143                      // glvw 5 mb 0 tt1 60 r 0
s_nop 1                                            // v_accvgpr read vgpr after write vgpr: 2 wait states
ds_bpermute_b32 v5, v0, v5, offset:8               // permute edge values
ds_bpermute_b32 v6, v0, v6, offset:12              // permute edge values
ds_bpermute_b32 v7, v0, v7, offset:12              // permute edge values
	;; [unrolled: 1-line block ×3, first 2 shown]
s_waitcnt 0                                        // wait for swizzle operation
v_accvgpr_write_b32 acc15, v5                      // 
v_accvgpr_write_b32 acc79, v6                      // 
v_accvgpr_write_b32 acc143, v7                     // 
v_accvgpr_write_b32 acc207, v8                     // 
v_accvgpr_read_b32 v5, acc223                      // glvw 5 mb 0 tt1 61 r 0
v_accvgpr_read_b32 v6, acc31                       // glvw 5 mb 0 tt1 61 r 0
v_accvgpr_read_b32 v7, acc95                       // glvw 5 mb 0 tt1 61 r 0
v_accvgpr_read_b32 v8, acc159                      // glvw 5 mb 0 tt1 61 r 0
s_nop 1                                            // v_accvgpr read vgpr after write vgpr: 2 wait states
ds_bpermute_b32 v5, v0, v5, offset:8               // permute edge values
ds_bpermute_b32 v6, v0, v6, offset:12              // permute edge values
ds_bpermute_b32 v7, v0, v7, offset:12              // permute edge values
	;; [unrolled: 1-line block ×3, first 2 shown]
s_waitcnt 0                                        // wait for swizzle operation
v_accvgpr_write_b32 acc31, v5                      // 
v_accvgpr_write_b32 acc95, v6                      // 
v_accvgpr_write_b32 acc159, v7                     // 
v_accvgpr_write_b32 acc223, v8                     // 
v_accvgpr_read_b32 v5, acc239                      // glvw 5 mb 0 tt1 62 r 0
v_accvgpr_read_b32 v6, acc47                       // glvw 5 mb 0 tt1 62 r 0
v_accvgpr_read_b32 v7, acc111                      // glvw 5 mb 0 tt1 62 r 0
v_accvgpr_read_b32 v8, acc175                      // glvw 5 mb 0 tt1 62 r 0
s_nop 1                                            // v_accvgpr read vgpr after write vgpr: 2 wait states
ds_bpermute_b32 v5, v0, v5, offset:8               // permute edge values
ds_bpermute_b32 v6, v0, v6, offset:12              // permute edge values
ds_bpermute_b32 v7, v0, v7, offset:12              // permute edge values
	;; [unrolled: 1-line block ×3, first 2 shown]
s_waitcnt 0                                        // wait for swizzle operation
v_accvgpr_write_b32 acc47, v5                      // 
v_accvgpr_write_b32 acc111, v6                     // 
v_accvgpr_write_b32 acc175, v7                     // 
v_accvgpr_write_b32 acc239, v8                     // 
v_accvgpr_read_b32 v5, acc255                      // glvw 5 mb 0 tt1 63 r 0
v_accvgpr_read_b32 v6, acc63                       // glvw 5 mb 0 tt1 63 r 0
v_accvgpr_read_b32 v7, acc127                      // glvw 5 mb 0 tt1 63 r 0
v_accvgpr_read_b32 v8, acc191                      // glvw 5 mb 0 tt1 63 r 0
s_nop 1                                            // v_accvgpr read vgpr after write vgpr: 2 wait states
ds_bpermute_b32 v5, v0, v5, offset:8               // permute edge values
ds_bpermute_b32 v6, v0, v6, offset:12              // permute edge values
ds_bpermute_b32 v7, v0, v7, offset:12              // permute edge values
	;; [unrolled: 1-line block ×3, first 2 shown]
s_waitcnt 0                                        // wait for swizzle operation
v_accvgpr_write_b32 acc63, v5                      // 
v_accvgpr_write_b32 acc127, v6                     // 
v_accvgpr_write_b32 acc191, v7                     // 
v_accvgpr_write_b32 acc255, v8                     // 
s_mov_b64 s[42:43], 0xFFFFFFFFFFFFFFFF             // to restore all threads active
s_or_saveexec_b64 vcc, s[42:43]                    // all threads active
s_branch label_0222                                // done shifting


/******************************************/
/* shift d1 r=6 mb=0 vw0                  */
/******************************************/
label_0194: // r6 mb0 vw0 
s_mov_b32 s42, 0                                   // 
_v_cmpx_eq_u32 s[42:43], v4, s42                   // is thread in edge glvw region
v_and_b32 v0, 63, v[vgprSerial]                    // permute register between threads
v_lshlrev_b32 v0, 2, v0                            // permute register between threads
v_accvgpr_read_b32 v5, acc128                      // glvw 6 mb 0 tt1 0 r 0
v_accvgpr_read_b32 v6, acc192                      // glvw 6 mb 0 tt1 0 r 0
v_accvgpr_read_b32 v7, acc0                        // glvw 6 mb 0 tt1 0 r 0
v_accvgpr_read_b32 v8, acc64                       // glvw 6 mb 0 tt1 0 r 0
s_nop 1                                            // v_accvgpr read vgpr after write vgpr: 2 wait states
ds_bpermute_b32 v5, v0, v5, offset:8               // permute edge values
ds_bpermute_b32 v6, v0, v6, offset:8               // permute edge values
ds_bpermute_b32 v7, v0, v7, offset:12              // permute edge values
ds_bpermute_b32 v8, v0, v8, offset:12              // permute edge values
s_waitcnt 0                                        // wait for swizzle operation
v_accvgpr_write_b32 acc0, v5                       // 
v_accvgpr_write_b32 acc64, v6                      // 
v_accvgpr_write_b32 acc128, v7                     // 
v_accvgpr_write_b32 acc192, v8                     // 
v_accvgpr_read_b32 v5, acc144                      // glvw 6 mb 0 tt1 1 r 0
v_accvgpr_read_b32 v6, acc208                      // glvw 6 mb 0 tt1 1 r 0
v_accvgpr_read_b32 v7, acc16                       // glvw 6 mb 0 tt1 1 r 0
v_accvgpr_read_b32 v8, acc80                       // glvw 6 mb 0 tt1 1 r 0
s_nop 1                                            // v_accvgpr read vgpr after write vgpr: 2 wait states
ds_bpermute_b32 v5, v0, v5, offset:8               // permute edge values
ds_bpermute_b32 v6, v0, v6, offset:8               // permute edge values
ds_bpermute_b32 v7, v0, v7, offset:12              // permute edge values
ds_bpermute_b32 v8, v0, v8, offset:12              // permute edge values
s_waitcnt 0                                        // wait for swizzle operation
v_accvgpr_write_b32 acc16, v5                      // 
v_accvgpr_write_b32 acc80, v6                      // 
v_accvgpr_write_b32 acc144, v7                     // 
v_accvgpr_write_b32 acc208, v8                     // 
v_accvgpr_read_b32 v5, acc160                      // glvw 6 mb 0 tt1 2 r 0
v_accvgpr_read_b32 v6, acc224                      // glvw 6 mb 0 tt1 2 r 0
v_accvgpr_read_b32 v7, acc32                       // glvw 6 mb 0 tt1 2 r 0
v_accvgpr_read_b32 v8, acc96                       // glvw 6 mb 0 tt1 2 r 0
s_nop 1                                            // v_accvgpr read vgpr after write vgpr: 2 wait states
ds_bpermute_b32 v5, v0, v5, offset:8               // permute edge values
ds_bpermute_b32 v6, v0, v6, offset:8               // permute edge values
ds_bpermute_b32 v7, v0, v7, offset:12              // permute edge values
ds_bpermute_b32 v8, v0, v8, offset:12              // permute edge values
s_waitcnt 0                                        // wait for swizzle operation
v_accvgpr_write_b32 acc32, v5                      // 
v_accvgpr_write_b32 acc96, v6                      // 
v_accvgpr_write_b32 acc160, v7                     // 
v_accvgpr_write_b32 acc224, v8                     // 
v_accvgpr_read_b32 v5, acc176                      // glvw 6 mb 0 tt1 3 r 0
v_accvgpr_read_b32 v6, acc240                      // glvw 6 mb 0 tt1 3 r 0
v_accvgpr_read_b32 v7, acc48                       // glvw 6 mb 0 tt1 3 r 0
v_accvgpr_read_b32 v8, acc112                      // glvw 6 mb 0 tt1 3 r 0
s_nop 1                                            // v_accvgpr read vgpr after write vgpr: 2 wait states
ds_bpermute_b32 v5, v0, v5, offset:8               // permute edge values
ds_bpermute_b32 v6, v0, v6, offset:8               // permute edge values
ds_bpermute_b32 v7, v0, v7, offset:12              // permute edge values
ds_bpermute_b32 v8, v0, v8, offset:12              // permute edge values
s_waitcnt 0                                        // wait for swizzle operation
v_accvgpr_write_b32 acc48, v5                      // 
v_accvgpr_write_b32 acc112, v6                     // 
v_accvgpr_write_b32 acc176, v7                     // 
v_accvgpr_write_b32 acc240, v8                     // 
v_accvgpr_read_b32 v5, acc129                      // glvw 6 mb 0 tt1 4 r 0
v_accvgpr_read_b32 v6, acc193                      // glvw 6 mb 0 tt1 4 r 0
v_accvgpr_read_b32 v7, acc1                        // glvw 6 mb 0 tt1 4 r 0
v_accvgpr_read_b32 v8, acc65                       // glvw 6 mb 0 tt1 4 r 0
s_nop 1                                            // v_accvgpr read vgpr after write vgpr: 2 wait states
ds_bpermute_b32 v5, v0, v5, offset:8               // permute edge values
ds_bpermute_b32 v6, v0, v6, offset:8               // permute edge values
ds_bpermute_b32 v7, v0, v7, offset:12              // permute edge values
ds_bpermute_b32 v8, v0, v8, offset:12              // permute edge values
s_waitcnt 0                                        // wait for swizzle operation
v_accvgpr_write_b32 acc1, v5                       // 
v_accvgpr_write_b32 acc65, v6                      // 
v_accvgpr_write_b32 acc129, v7                     // 
v_accvgpr_write_b32 acc193, v8                     // 
v_accvgpr_read_b32 v5, acc145                      // glvw 6 mb 0 tt1 5 r 0
v_accvgpr_read_b32 v6, acc209                      // glvw 6 mb 0 tt1 5 r 0
v_accvgpr_read_b32 v7, acc17                       // glvw 6 mb 0 tt1 5 r 0
v_accvgpr_read_b32 v8, acc81                       // glvw 6 mb 0 tt1 5 r 0
s_nop 1                                            // v_accvgpr read vgpr after write vgpr: 2 wait states
ds_bpermute_b32 v5, v0, v5, offset:8               // permute edge values
ds_bpermute_b32 v6, v0, v6, offset:8               // permute edge values
ds_bpermute_b32 v7, v0, v7, offset:12              // permute edge values
ds_bpermute_b32 v8, v0, v8, offset:12              // permute edge values
s_waitcnt 0                                        // wait for swizzle operation
v_accvgpr_write_b32 acc17, v5                      // 
v_accvgpr_write_b32 acc81, v6                      // 
v_accvgpr_write_b32 acc145, v7                     // 
v_accvgpr_write_b32 acc209, v8                     // 
v_accvgpr_read_b32 v5, acc161                      // glvw 6 mb 0 tt1 6 r 0
v_accvgpr_read_b32 v6, acc225                      // glvw 6 mb 0 tt1 6 r 0
v_accvgpr_read_b32 v7, acc33                       // glvw 6 mb 0 tt1 6 r 0
v_accvgpr_read_b32 v8, acc97                       // glvw 6 mb 0 tt1 6 r 0
s_nop 1                                            // v_accvgpr read vgpr after write vgpr: 2 wait states
ds_bpermute_b32 v5, v0, v5, offset:8               // permute edge values
ds_bpermute_b32 v6, v0, v6, offset:8               // permute edge values
ds_bpermute_b32 v7, v0, v7, offset:12              // permute edge values
ds_bpermute_b32 v8, v0, v8, offset:12              // permute edge values
s_waitcnt 0                                        // wait for swizzle operation
v_accvgpr_write_b32 acc33, v5                      // 
v_accvgpr_write_b32 acc97, v6                      // 
v_accvgpr_write_b32 acc161, v7                     // 
v_accvgpr_write_b32 acc225, v8                     // 
v_accvgpr_read_b32 v5, acc177                      // glvw 6 mb 0 tt1 7 r 0
v_accvgpr_read_b32 v6, acc241                      // glvw 6 mb 0 tt1 7 r 0
v_accvgpr_read_b32 v7, acc49                       // glvw 6 mb 0 tt1 7 r 0
v_accvgpr_read_b32 v8, acc113                      // glvw 6 mb 0 tt1 7 r 0
s_nop 1                                            // v_accvgpr read vgpr after write vgpr: 2 wait states
ds_bpermute_b32 v5, v0, v5, offset:8               // permute edge values
ds_bpermute_b32 v6, v0, v6, offset:8               // permute edge values
ds_bpermute_b32 v7, v0, v7, offset:12              // permute edge values
ds_bpermute_b32 v8, v0, v8, offset:12              // permute edge values
s_waitcnt 0                                        // wait for swizzle operation
v_accvgpr_write_b32 acc49, v5                      // 
v_accvgpr_write_b32 acc113, v6                     // 
v_accvgpr_write_b32 acc177, v7                     // 
v_accvgpr_write_b32 acc241, v8                     // 
v_accvgpr_read_b32 v5, acc130                      // glvw 6 mb 0 tt1 8 r 0
v_accvgpr_read_b32 v6, acc194                      // glvw 6 mb 0 tt1 8 r 0
v_accvgpr_read_b32 v7, acc2                        // glvw 6 mb 0 tt1 8 r 0
v_accvgpr_read_b32 v8, acc66                       // glvw 6 mb 0 tt1 8 r 0
s_nop 1                                            // v_accvgpr read vgpr after write vgpr: 2 wait states
ds_bpermute_b32 v5, v0, v5, offset:8               // permute edge values
ds_bpermute_b32 v6, v0, v6, offset:8               // permute edge values
ds_bpermute_b32 v7, v0, v7, offset:12              // permute edge values
ds_bpermute_b32 v8, v0, v8, offset:12              // permute edge values
s_waitcnt 0                                        // wait for swizzle operation
v_accvgpr_write_b32 acc2, v5                       // 
v_accvgpr_write_b32 acc66, v6                      // 
v_accvgpr_write_b32 acc130, v7                     // 
v_accvgpr_write_b32 acc194, v8                     // 
v_accvgpr_read_b32 v5, acc146                      // glvw 6 mb 0 tt1 9 r 0
v_accvgpr_read_b32 v6, acc210                      // glvw 6 mb 0 tt1 9 r 0
v_accvgpr_read_b32 v7, acc18                       // glvw 6 mb 0 tt1 9 r 0
v_accvgpr_read_b32 v8, acc82                       // glvw 6 mb 0 tt1 9 r 0
s_nop 1                                            // v_accvgpr read vgpr after write vgpr: 2 wait states
ds_bpermute_b32 v5, v0, v5, offset:8               // permute edge values
ds_bpermute_b32 v6, v0, v6, offset:8               // permute edge values
ds_bpermute_b32 v7, v0, v7, offset:12              // permute edge values
ds_bpermute_b32 v8, v0, v8, offset:12              // permute edge values
s_waitcnt 0                                        // wait for swizzle operation
v_accvgpr_write_b32 acc18, v5                      // 
v_accvgpr_write_b32 acc82, v6                      // 
v_accvgpr_write_b32 acc146, v7                     // 
v_accvgpr_write_b32 acc210, v8                     // 
v_accvgpr_read_b32 v5, acc162                      // glvw 6 mb 0 tt1 10 r 0
v_accvgpr_read_b32 v6, acc226                      // glvw 6 mb 0 tt1 10 r 0
v_accvgpr_read_b32 v7, acc34                       // glvw 6 mb 0 tt1 10 r 0
v_accvgpr_read_b32 v8, acc98                       // glvw 6 mb 0 tt1 10 r 0
s_nop 1                                            // v_accvgpr read vgpr after write vgpr: 2 wait states
ds_bpermute_b32 v5, v0, v5, offset:8               // permute edge values
ds_bpermute_b32 v6, v0, v6, offset:8               // permute edge values
ds_bpermute_b32 v7, v0, v7, offset:12              // permute edge values
ds_bpermute_b32 v8, v0, v8, offset:12              // permute edge values
s_waitcnt 0                                        // wait for swizzle operation
v_accvgpr_write_b32 acc34, v5                      // 
v_accvgpr_write_b32 acc98, v6                      // 
v_accvgpr_write_b32 acc162, v7                     // 
v_accvgpr_write_b32 acc226, v8                     // 
v_accvgpr_read_b32 v5, acc178                      // glvw 6 mb 0 tt1 11 r 0
v_accvgpr_read_b32 v6, acc242                      // glvw 6 mb 0 tt1 11 r 0
v_accvgpr_read_b32 v7, acc50                       // glvw 6 mb 0 tt1 11 r 0
v_accvgpr_read_b32 v8, acc114                      // glvw 6 mb 0 tt1 11 r 0
s_nop 1                                            // v_accvgpr read vgpr after write vgpr: 2 wait states
ds_bpermute_b32 v5, v0, v5, offset:8               // permute edge values
ds_bpermute_b32 v6, v0, v6, offset:8               // permute edge values
ds_bpermute_b32 v7, v0, v7, offset:12              // permute edge values
ds_bpermute_b32 v8, v0, v8, offset:12              // permute edge values
s_waitcnt 0                                        // wait for swizzle operation
v_accvgpr_write_b32 acc50, v5                      // 
v_accvgpr_write_b32 acc114, v6                     // 
v_accvgpr_write_b32 acc178, v7                     // 
v_accvgpr_write_b32 acc242, v8                     // 
v_accvgpr_read_b32 v5, acc131                      // glvw 6 mb 0 tt1 12 r 0
v_accvgpr_read_b32 v6, acc195                      // glvw 6 mb 0 tt1 12 r 0
v_accvgpr_read_b32 v7, acc3                        // glvw 6 mb 0 tt1 12 r 0
v_accvgpr_read_b32 v8, acc67                       // glvw 6 mb 0 tt1 12 r 0
s_nop 1                                            // v_accvgpr read vgpr after write vgpr: 2 wait states
ds_bpermute_b32 v5, v0, v5, offset:8               // permute edge values
ds_bpermute_b32 v6, v0, v6, offset:8               // permute edge values
ds_bpermute_b32 v7, v0, v7, offset:12              // permute edge values
ds_bpermute_b32 v8, v0, v8, offset:12              // permute edge values
s_waitcnt 0                                        // wait for swizzle operation
v_accvgpr_write_b32 acc3, v5                       // 
v_accvgpr_write_b32 acc67, v6                      // 
v_accvgpr_write_b32 acc131, v7                     // 
v_accvgpr_write_b32 acc195, v8                     // 
v_accvgpr_read_b32 v5, acc147                      // glvw 6 mb 0 tt1 13 r 0
v_accvgpr_read_b32 v6, acc211                      // glvw 6 mb 0 tt1 13 r 0
v_accvgpr_read_b32 v7, acc19                       // glvw 6 mb 0 tt1 13 r 0
v_accvgpr_read_b32 v8, acc83                       // glvw 6 mb 0 tt1 13 r 0
s_nop 1                                            // v_accvgpr read vgpr after write vgpr: 2 wait states
ds_bpermute_b32 v5, v0, v5, offset:8               // permute edge values
ds_bpermute_b32 v6, v0, v6, offset:8               // permute edge values
ds_bpermute_b32 v7, v0, v7, offset:12              // permute edge values
ds_bpermute_b32 v8, v0, v8, offset:12              // permute edge values
s_waitcnt 0                                        // wait for swizzle operation
v_accvgpr_write_b32 acc19, v5                      // 
v_accvgpr_write_b32 acc83, v6                      // 
v_accvgpr_write_b32 acc147, v7                     // 
v_accvgpr_write_b32 acc211, v8                     // 
v_accvgpr_read_b32 v5, acc163                      // glvw 6 mb 0 tt1 14 r 0
v_accvgpr_read_b32 v6, acc227                      // glvw 6 mb 0 tt1 14 r 0
v_accvgpr_read_b32 v7, acc35                       // glvw 6 mb 0 tt1 14 r 0
v_accvgpr_read_b32 v8, acc99                       // glvw 6 mb 0 tt1 14 r 0
s_nop 1                                            // v_accvgpr read vgpr after write vgpr: 2 wait states
ds_bpermute_b32 v5, v0, v5, offset:8               // permute edge values
ds_bpermute_b32 v6, v0, v6, offset:8               // permute edge values
ds_bpermute_b32 v7, v0, v7, offset:12              // permute edge values
ds_bpermute_b32 v8, v0, v8, offset:12              // permute edge values
s_waitcnt 0                                        // wait for swizzle operation
v_accvgpr_write_b32 acc35, v5                      // 
v_accvgpr_write_b32 acc99, v6                      // 
v_accvgpr_write_b32 acc163, v7                     // 
v_accvgpr_write_b32 acc227, v8                     // 
v_accvgpr_read_b32 v5, acc179                      // glvw 6 mb 0 tt1 15 r 0
v_accvgpr_read_b32 v6, acc243                      // glvw 6 mb 0 tt1 15 r 0
v_accvgpr_read_b32 v7, acc51                       // glvw 6 mb 0 tt1 15 r 0
v_accvgpr_read_b32 v8, acc115                      // glvw 6 mb 0 tt1 15 r 0
s_nop 1                                            // v_accvgpr read vgpr after write vgpr: 2 wait states
ds_bpermute_b32 v5, v0, v5, offset:8               // permute edge values
ds_bpermute_b32 v6, v0, v6, offset:8               // permute edge values
ds_bpermute_b32 v7, v0, v7, offset:12              // permute edge values
ds_bpermute_b32 v8, v0, v8, offset:12              // permute edge values
s_waitcnt 0                                        // wait for swizzle operation
v_accvgpr_write_b32 acc51, v5                      // 
v_accvgpr_write_b32 acc115, v6                     // 
v_accvgpr_write_b32 acc179, v7                     // 
v_accvgpr_write_b32 acc243, v8                     // 
v_accvgpr_read_b32 v5, acc132                      // glvw 6 mb 0 tt1 16 r 0
v_accvgpr_read_b32 v6, acc196                      // glvw 6 mb 0 tt1 16 r 0
v_accvgpr_read_b32 v7, acc4                        // glvw 6 mb 0 tt1 16 r 0
v_accvgpr_read_b32 v8, acc68                       // glvw 6 mb 0 tt1 16 r 0
s_nop 1                                            // v_accvgpr read vgpr after write vgpr: 2 wait states
ds_bpermute_b32 v5, v0, v5, offset:8               // permute edge values
ds_bpermute_b32 v6, v0, v6, offset:8               // permute edge values
ds_bpermute_b32 v7, v0, v7, offset:12              // permute edge values
ds_bpermute_b32 v8, v0, v8, offset:12              // permute edge values
s_waitcnt 0                                        // wait for swizzle operation
v_accvgpr_write_b32 acc4, v5                       // 
v_accvgpr_write_b32 acc68, v6                      // 
v_accvgpr_write_b32 acc132, v7                     // 
v_accvgpr_write_b32 acc196, v8                     // 
v_accvgpr_read_b32 v5, acc148                      // glvw 6 mb 0 tt1 17 r 0
v_accvgpr_read_b32 v6, acc212                      // glvw 6 mb 0 tt1 17 r 0
v_accvgpr_read_b32 v7, acc20                       // glvw 6 mb 0 tt1 17 r 0
v_accvgpr_read_b32 v8, acc84                       // glvw 6 mb 0 tt1 17 r 0
s_nop 1                                            // v_accvgpr read vgpr after write vgpr: 2 wait states
ds_bpermute_b32 v5, v0, v5, offset:8               // permute edge values
ds_bpermute_b32 v6, v0, v6, offset:8               // permute edge values
ds_bpermute_b32 v7, v0, v7, offset:12              // permute edge values
ds_bpermute_b32 v8, v0, v8, offset:12              // permute edge values
s_waitcnt 0                                        // wait for swizzle operation
v_accvgpr_write_b32 acc20, v5                      // 
v_accvgpr_write_b32 acc84, v6                      // 
v_accvgpr_write_b32 acc148, v7                     // 
v_accvgpr_write_b32 acc212, v8                     // 
v_accvgpr_read_b32 v5, acc164                      // glvw 6 mb 0 tt1 18 r 0
v_accvgpr_read_b32 v6, acc228                      // glvw 6 mb 0 tt1 18 r 0
v_accvgpr_read_b32 v7, acc36                       // glvw 6 mb 0 tt1 18 r 0
v_accvgpr_read_b32 v8, acc100                      // glvw 6 mb 0 tt1 18 r 0
s_nop 1                                            // v_accvgpr read vgpr after write vgpr: 2 wait states
ds_bpermute_b32 v5, v0, v5, offset:8               // permute edge values
ds_bpermute_b32 v6, v0, v6, offset:8               // permute edge values
ds_bpermute_b32 v7, v0, v7, offset:12              // permute edge values
ds_bpermute_b32 v8, v0, v8, offset:12              // permute edge values
s_waitcnt 0                                        // wait for swizzle operation
v_accvgpr_write_b32 acc36, v5                      // 
v_accvgpr_write_b32 acc100, v6                     // 
v_accvgpr_write_b32 acc164, v7                     // 
v_accvgpr_write_b32 acc228, v8                     // 
v_accvgpr_read_b32 v5, acc180                      // glvw 6 mb 0 tt1 19 r 0
v_accvgpr_read_b32 v6, acc244                      // glvw 6 mb 0 tt1 19 r 0
v_accvgpr_read_b32 v7, acc52                       // glvw 6 mb 0 tt1 19 r 0
v_accvgpr_read_b32 v8, acc116                      // glvw 6 mb 0 tt1 19 r 0
s_nop 1                                            // v_accvgpr read vgpr after write vgpr: 2 wait states
ds_bpermute_b32 v5, v0, v5, offset:8               // permute edge values
ds_bpermute_b32 v6, v0, v6, offset:8               // permute edge values
ds_bpermute_b32 v7, v0, v7, offset:12              // permute edge values
ds_bpermute_b32 v8, v0, v8, offset:12              // permute edge values
s_waitcnt 0                                        // wait for swizzle operation
v_accvgpr_write_b32 acc52, v5                      // 
v_accvgpr_write_b32 acc116, v6                     // 
v_accvgpr_write_b32 acc180, v7                     // 
v_accvgpr_write_b32 acc244, v8                     // 
v_accvgpr_read_b32 v5, acc133                      // glvw 6 mb 0 tt1 20 r 0
v_accvgpr_read_b32 v6, acc197                      // glvw 6 mb 0 tt1 20 r 0
v_accvgpr_read_b32 v7, acc5                        // glvw 6 mb 0 tt1 20 r 0
v_accvgpr_read_b32 v8, acc69                       // glvw 6 mb 0 tt1 20 r 0
s_nop 1                                            // v_accvgpr read vgpr after write vgpr: 2 wait states
ds_bpermute_b32 v5, v0, v5, offset:8               // permute edge values
ds_bpermute_b32 v6, v0, v6, offset:8               // permute edge values
ds_bpermute_b32 v7, v0, v7, offset:12              // permute edge values
ds_bpermute_b32 v8, v0, v8, offset:12              // permute edge values
s_waitcnt 0                                        // wait for swizzle operation
v_accvgpr_write_b32 acc5, v5                       // 
v_accvgpr_write_b32 acc69, v6                      // 
v_accvgpr_write_b32 acc133, v7                     // 
v_accvgpr_write_b32 acc197, v8                     // 
v_accvgpr_read_b32 v5, acc149                      // glvw 6 mb 0 tt1 21 r 0
v_accvgpr_read_b32 v6, acc213                      // glvw 6 mb 0 tt1 21 r 0
v_accvgpr_read_b32 v7, acc21                       // glvw 6 mb 0 tt1 21 r 0
v_accvgpr_read_b32 v8, acc85                       // glvw 6 mb 0 tt1 21 r 0
s_nop 1                                            // v_accvgpr read vgpr after write vgpr: 2 wait states
ds_bpermute_b32 v5, v0, v5, offset:8               // permute edge values
ds_bpermute_b32 v6, v0, v6, offset:8               // permute edge values
ds_bpermute_b32 v7, v0, v7, offset:12              // permute edge values
ds_bpermute_b32 v8, v0, v8, offset:12              // permute edge values
s_waitcnt 0                                        // wait for swizzle operation
v_accvgpr_write_b32 acc21, v5                      // 
v_accvgpr_write_b32 acc85, v6                      // 
v_accvgpr_write_b32 acc149, v7                     // 
v_accvgpr_write_b32 acc213, v8                     // 
v_accvgpr_read_b32 v5, acc165                      // glvw 6 mb 0 tt1 22 r 0
v_accvgpr_read_b32 v6, acc229                      // glvw 6 mb 0 tt1 22 r 0
v_accvgpr_read_b32 v7, acc37                       // glvw 6 mb 0 tt1 22 r 0
v_accvgpr_read_b32 v8, acc101                      // glvw 6 mb 0 tt1 22 r 0
s_nop 1                                            // v_accvgpr read vgpr after write vgpr: 2 wait states
ds_bpermute_b32 v5, v0, v5, offset:8               // permute edge values
ds_bpermute_b32 v6, v0, v6, offset:8               // permute edge values
ds_bpermute_b32 v7, v0, v7, offset:12              // permute edge values
ds_bpermute_b32 v8, v0, v8, offset:12              // permute edge values
s_waitcnt 0                                        // wait for swizzle operation
v_accvgpr_write_b32 acc37, v5                      // 
v_accvgpr_write_b32 acc101, v6                     // 
v_accvgpr_write_b32 acc165, v7                     // 
v_accvgpr_write_b32 acc229, v8                     // 
v_accvgpr_read_b32 v5, acc181                      // glvw 6 mb 0 tt1 23 r 0
v_accvgpr_read_b32 v6, acc245                      // glvw 6 mb 0 tt1 23 r 0
v_accvgpr_read_b32 v7, acc53                       // glvw 6 mb 0 tt1 23 r 0
v_accvgpr_read_b32 v8, acc117                      // glvw 6 mb 0 tt1 23 r 0
s_nop 1                                            // v_accvgpr read vgpr after write vgpr: 2 wait states
ds_bpermute_b32 v5, v0, v5, offset:8               // permute edge values
ds_bpermute_b32 v6, v0, v6, offset:8               // permute edge values
ds_bpermute_b32 v7, v0, v7, offset:12              // permute edge values
ds_bpermute_b32 v8, v0, v8, offset:12              // permute edge values
s_waitcnt 0                                        // wait for swizzle operation
v_accvgpr_write_b32 acc53, v5                      // 
v_accvgpr_write_b32 acc117, v6                     // 
v_accvgpr_write_b32 acc181, v7                     // 
v_accvgpr_write_b32 acc245, v8                     // 
v_accvgpr_read_b32 v5, acc134                      // glvw 6 mb 0 tt1 24 r 0
v_accvgpr_read_b32 v6, acc198                      // glvw 6 mb 0 tt1 24 r 0
v_accvgpr_read_b32 v7, acc6                        // glvw 6 mb 0 tt1 24 r 0
v_accvgpr_read_b32 v8, acc70                       // glvw 6 mb 0 tt1 24 r 0
s_nop 1                                            // v_accvgpr read vgpr after write vgpr: 2 wait states
ds_bpermute_b32 v5, v0, v5, offset:8               // permute edge values
ds_bpermute_b32 v6, v0, v6, offset:8               // permute edge values
ds_bpermute_b32 v7, v0, v7, offset:12              // permute edge values
ds_bpermute_b32 v8, v0, v8, offset:12              // permute edge values
s_waitcnt 0                                        // wait for swizzle operation
v_accvgpr_write_b32 acc6, v5                       // 
v_accvgpr_write_b32 acc70, v6                      // 
v_accvgpr_write_b32 acc134, v7                     // 
v_accvgpr_write_b32 acc198, v8                     // 
v_accvgpr_read_b32 v5, acc150                      // glvw 6 mb 0 tt1 25 r 0
v_accvgpr_read_b32 v6, acc214                      // glvw 6 mb 0 tt1 25 r 0
v_accvgpr_read_b32 v7, acc22                       // glvw 6 mb 0 tt1 25 r 0
v_accvgpr_read_b32 v8, acc86                       // glvw 6 mb 0 tt1 25 r 0
s_nop 1                                            // v_accvgpr read vgpr after write vgpr: 2 wait states
ds_bpermute_b32 v5, v0, v5, offset:8               // permute edge values
ds_bpermute_b32 v6, v0, v6, offset:8               // permute edge values
ds_bpermute_b32 v7, v0, v7, offset:12              // permute edge values
ds_bpermute_b32 v8, v0, v8, offset:12              // permute edge values
s_waitcnt 0                                        // wait for swizzle operation
v_accvgpr_write_b32 acc22, v5                      // 
v_accvgpr_write_b32 acc86, v6                      // 
v_accvgpr_write_b32 acc150, v7                     // 
v_accvgpr_write_b32 acc214, v8                     // 
v_accvgpr_read_b32 v5, acc166                      // glvw 6 mb 0 tt1 26 r 0
v_accvgpr_read_b32 v6, acc230                      // glvw 6 mb 0 tt1 26 r 0
v_accvgpr_read_b32 v7, acc38                       // glvw 6 mb 0 tt1 26 r 0
v_accvgpr_read_b32 v8, acc102                      // glvw 6 mb 0 tt1 26 r 0
s_nop 1                                            // v_accvgpr read vgpr after write vgpr: 2 wait states
ds_bpermute_b32 v5, v0, v5, offset:8               // permute edge values
ds_bpermute_b32 v6, v0, v6, offset:8               // permute edge values
ds_bpermute_b32 v7, v0, v7, offset:12              // permute edge values
ds_bpermute_b32 v8, v0, v8, offset:12              // permute edge values
s_waitcnt 0                                        // wait for swizzle operation
v_accvgpr_write_b32 acc38, v5                      // 
v_accvgpr_write_b32 acc102, v6                     // 
v_accvgpr_write_b32 acc166, v7                     // 
v_accvgpr_write_b32 acc230, v8                     // 
v_accvgpr_read_b32 v5, acc182                      // glvw 6 mb 0 tt1 27 r 0
v_accvgpr_read_b32 v6, acc246                      // glvw 6 mb 0 tt1 27 r 0
v_accvgpr_read_b32 v7, acc54                       // glvw 6 mb 0 tt1 27 r 0
v_accvgpr_read_b32 v8, acc118                      // glvw 6 mb 0 tt1 27 r 0
s_nop 1                                            // v_accvgpr read vgpr after write vgpr: 2 wait states
ds_bpermute_b32 v5, v0, v5, offset:8               // permute edge values
ds_bpermute_b32 v6, v0, v6, offset:8               // permute edge values
ds_bpermute_b32 v7, v0, v7, offset:12              // permute edge values
ds_bpermute_b32 v8, v0, v8, offset:12              // permute edge values
s_waitcnt 0                                        // wait for swizzle operation
v_accvgpr_write_b32 acc54, v5                      // 
v_accvgpr_write_b32 acc118, v6                     // 
v_accvgpr_write_b32 acc182, v7                     // 
v_accvgpr_write_b32 acc246, v8                     // 
v_accvgpr_read_b32 v5, acc135                      // glvw 6 mb 0 tt1 28 r 0
v_accvgpr_read_b32 v6, acc199                      // glvw 6 mb 0 tt1 28 r 0
v_accvgpr_read_b32 v7, acc7                        // glvw 6 mb 0 tt1 28 r 0
v_accvgpr_read_b32 v8, acc71                       // glvw 6 mb 0 tt1 28 r 0
s_nop 1                                            // v_accvgpr read vgpr after write vgpr: 2 wait states
ds_bpermute_b32 v5, v0, v5, offset:8               // permute edge values
ds_bpermute_b32 v6, v0, v6, offset:8               // permute edge values
ds_bpermute_b32 v7, v0, v7, offset:12              // permute edge values
ds_bpermute_b32 v8, v0, v8, offset:12              // permute edge values
s_waitcnt 0                                        // wait for swizzle operation
v_accvgpr_write_b32 acc7, v5                       // 
v_accvgpr_write_b32 acc71, v6                      // 
v_accvgpr_write_b32 acc135, v7                     // 
v_accvgpr_write_b32 acc199, v8                     // 
v_accvgpr_read_b32 v5, acc151                      // glvw 6 mb 0 tt1 29 r 0
v_accvgpr_read_b32 v6, acc215                      // glvw 6 mb 0 tt1 29 r 0
v_accvgpr_read_b32 v7, acc23                       // glvw 6 mb 0 tt1 29 r 0
v_accvgpr_read_b32 v8, acc87                       // glvw 6 mb 0 tt1 29 r 0
s_nop 1                                            // v_accvgpr read vgpr after write vgpr: 2 wait states
ds_bpermute_b32 v5, v0, v5, offset:8               // permute edge values
ds_bpermute_b32 v6, v0, v6, offset:8               // permute edge values
ds_bpermute_b32 v7, v0, v7, offset:12              // permute edge values
ds_bpermute_b32 v8, v0, v8, offset:12              // permute edge values
s_waitcnt 0                                        // wait for swizzle operation
v_accvgpr_write_b32 acc23, v5                      // 
v_accvgpr_write_b32 acc87, v6                      // 
v_accvgpr_write_b32 acc151, v7                     // 
v_accvgpr_write_b32 acc215, v8                     // 
v_accvgpr_read_b32 v5, acc167                      // glvw 6 mb 0 tt1 30 r 0
v_accvgpr_read_b32 v6, acc231                      // glvw 6 mb 0 tt1 30 r 0
v_accvgpr_read_b32 v7, acc39                       // glvw 6 mb 0 tt1 30 r 0
v_accvgpr_read_b32 v8, acc103                      // glvw 6 mb 0 tt1 30 r 0
s_nop 1                                            // v_accvgpr read vgpr after write vgpr: 2 wait states
ds_bpermute_b32 v5, v0, v5, offset:8               // permute edge values
ds_bpermute_b32 v6, v0, v6, offset:8               // permute edge values
ds_bpermute_b32 v7, v0, v7, offset:12              // permute edge values
ds_bpermute_b32 v8, v0, v8, offset:12              // permute edge values
s_waitcnt 0                                        // wait for swizzle operation
v_accvgpr_write_b32 acc39, v5                      // 
v_accvgpr_write_b32 acc103, v6                     // 
v_accvgpr_write_b32 acc167, v7                     // 
v_accvgpr_write_b32 acc231, v8                     // 
v_accvgpr_read_b32 v5, acc183                      // glvw 6 mb 0 tt1 31 r 0
v_accvgpr_read_b32 v6, acc247                      // glvw 6 mb 0 tt1 31 r 0
v_accvgpr_read_b32 v7, acc55                       // glvw 6 mb 0 tt1 31 r 0
v_accvgpr_read_b32 v8, acc119                      // glvw 6 mb 0 tt1 31 r 0
s_nop 1                                            // v_accvgpr read vgpr after write vgpr: 2 wait states
ds_bpermute_b32 v5, v0, v5, offset:8               // permute edge values
ds_bpermute_b32 v6, v0, v6, offset:8               // permute edge values
ds_bpermute_b32 v7, v0, v7, offset:12              // permute edge values
ds_bpermute_b32 v8, v0, v8, offset:12              // permute edge values
s_waitcnt 0                                        // wait for swizzle operation
v_accvgpr_write_b32 acc55, v5                      // 
v_accvgpr_write_b32 acc119, v6                     // 
v_accvgpr_write_b32 acc183, v7                     // 
v_accvgpr_write_b32 acc247, v8                     // 
v_accvgpr_read_b32 v5, acc136                      // glvw 6 mb 0 tt1 32 r 0
v_accvgpr_read_b32 v6, acc200                      // glvw 6 mb 0 tt1 32 r 0
v_accvgpr_read_b32 v7, acc8                        // glvw 6 mb 0 tt1 32 r 0
v_accvgpr_read_b32 v8, acc72                       // glvw 6 mb 0 tt1 32 r 0
s_nop 1                                            // v_accvgpr read vgpr after write vgpr: 2 wait states
ds_bpermute_b32 v5, v0, v5, offset:8               // permute edge values
ds_bpermute_b32 v6, v0, v6, offset:8               // permute edge values
ds_bpermute_b32 v7, v0, v7, offset:12              // permute edge values
ds_bpermute_b32 v8, v0, v8, offset:12              // permute edge values
s_waitcnt 0                                        // wait for swizzle operation
v_accvgpr_write_b32 acc8, v5                       // 
v_accvgpr_write_b32 acc72, v6                      // 
v_accvgpr_write_b32 acc136, v7                     // 
v_accvgpr_write_b32 acc200, v8                     // 
v_accvgpr_read_b32 v5, acc152                      // glvw 6 mb 0 tt1 33 r 0
v_accvgpr_read_b32 v6, acc216                      // glvw 6 mb 0 tt1 33 r 0
v_accvgpr_read_b32 v7, acc24                       // glvw 6 mb 0 tt1 33 r 0
v_accvgpr_read_b32 v8, acc88                       // glvw 6 mb 0 tt1 33 r 0
s_nop 1                                            // v_accvgpr read vgpr after write vgpr: 2 wait states
ds_bpermute_b32 v5, v0, v5, offset:8               // permute edge values
ds_bpermute_b32 v6, v0, v6, offset:8               // permute edge values
ds_bpermute_b32 v7, v0, v7, offset:12              // permute edge values
ds_bpermute_b32 v8, v0, v8, offset:12              // permute edge values
s_waitcnt 0                                        // wait for swizzle operation
v_accvgpr_write_b32 acc24, v5                      // 
v_accvgpr_write_b32 acc88, v6                      // 
v_accvgpr_write_b32 acc152, v7                     // 
v_accvgpr_write_b32 acc216, v8                     // 
v_accvgpr_read_b32 v5, acc168                      // glvw 6 mb 0 tt1 34 r 0
v_accvgpr_read_b32 v6, acc232                      // glvw 6 mb 0 tt1 34 r 0
v_accvgpr_read_b32 v7, acc40                       // glvw 6 mb 0 tt1 34 r 0
v_accvgpr_read_b32 v8, acc104                      // glvw 6 mb 0 tt1 34 r 0
s_nop 1                                            // v_accvgpr read vgpr after write vgpr: 2 wait states
ds_bpermute_b32 v5, v0, v5, offset:8               // permute edge values
ds_bpermute_b32 v6, v0, v6, offset:8               // permute edge values
ds_bpermute_b32 v7, v0, v7, offset:12              // permute edge values
ds_bpermute_b32 v8, v0, v8, offset:12              // permute edge values
s_waitcnt 0                                        // wait for swizzle operation
v_accvgpr_write_b32 acc40, v5                      // 
v_accvgpr_write_b32 acc104, v6                     // 
v_accvgpr_write_b32 acc168, v7                     // 
v_accvgpr_write_b32 acc232, v8                     // 
v_accvgpr_read_b32 v5, acc184                      // glvw 6 mb 0 tt1 35 r 0
v_accvgpr_read_b32 v6, acc248                      // glvw 6 mb 0 tt1 35 r 0
v_accvgpr_read_b32 v7, acc56                       // glvw 6 mb 0 tt1 35 r 0
v_accvgpr_read_b32 v8, acc120                      // glvw 6 mb 0 tt1 35 r 0
s_nop 1                                            // v_accvgpr read vgpr after write vgpr: 2 wait states
ds_bpermute_b32 v5, v0, v5, offset:8               // permute edge values
ds_bpermute_b32 v6, v0, v6, offset:8               // permute edge values
ds_bpermute_b32 v7, v0, v7, offset:12              // permute edge values
ds_bpermute_b32 v8, v0, v8, offset:12              // permute edge values
s_waitcnt 0                                        // wait for swizzle operation
v_accvgpr_write_b32 acc56, v5                      // 
v_accvgpr_write_b32 acc120, v6                     // 
v_accvgpr_write_b32 acc184, v7                     // 
v_accvgpr_write_b32 acc248, v8                     // 
v_accvgpr_read_b32 v5, acc137                      // glvw 6 mb 0 tt1 36 r 0
v_accvgpr_read_b32 v6, acc201                      // glvw 6 mb 0 tt1 36 r 0
v_accvgpr_read_b32 v7, acc9                        // glvw 6 mb 0 tt1 36 r 0
v_accvgpr_read_b32 v8, acc73                       // glvw 6 mb 0 tt1 36 r 0
s_nop 1                                            // v_accvgpr read vgpr after write vgpr: 2 wait states
ds_bpermute_b32 v5, v0, v5, offset:8               // permute edge values
ds_bpermute_b32 v6, v0, v6, offset:8               // permute edge values
ds_bpermute_b32 v7, v0, v7, offset:12              // permute edge values
ds_bpermute_b32 v8, v0, v8, offset:12              // permute edge values
s_waitcnt 0                                        // wait for swizzle operation
v_accvgpr_write_b32 acc9, v5                       // 
v_accvgpr_write_b32 acc73, v6                      // 
v_accvgpr_write_b32 acc137, v7                     // 
v_accvgpr_write_b32 acc201, v8                     // 
v_accvgpr_read_b32 v5, acc153                      // glvw 6 mb 0 tt1 37 r 0
v_accvgpr_read_b32 v6, acc217                      // glvw 6 mb 0 tt1 37 r 0
v_accvgpr_read_b32 v7, acc25                       // glvw 6 mb 0 tt1 37 r 0
v_accvgpr_read_b32 v8, acc89                       // glvw 6 mb 0 tt1 37 r 0
s_nop 1                                            // v_accvgpr read vgpr after write vgpr: 2 wait states
ds_bpermute_b32 v5, v0, v5, offset:8               // permute edge values
ds_bpermute_b32 v6, v0, v6, offset:8               // permute edge values
ds_bpermute_b32 v7, v0, v7, offset:12              // permute edge values
ds_bpermute_b32 v8, v0, v8, offset:12              // permute edge values
s_waitcnt 0                                        // wait for swizzle operation
v_accvgpr_write_b32 acc25, v5                      // 
v_accvgpr_write_b32 acc89, v6                      // 
v_accvgpr_write_b32 acc153, v7                     // 
v_accvgpr_write_b32 acc217, v8                     // 
v_accvgpr_read_b32 v5, acc169                      // glvw 6 mb 0 tt1 38 r 0
v_accvgpr_read_b32 v6, acc233                      // glvw 6 mb 0 tt1 38 r 0
v_accvgpr_read_b32 v7, acc41                       // glvw 6 mb 0 tt1 38 r 0
v_accvgpr_read_b32 v8, acc105                      // glvw 6 mb 0 tt1 38 r 0
s_nop 1                                            // v_accvgpr read vgpr after write vgpr: 2 wait states
ds_bpermute_b32 v5, v0, v5, offset:8               // permute edge values
ds_bpermute_b32 v6, v0, v6, offset:8               // permute edge values
ds_bpermute_b32 v7, v0, v7, offset:12              // permute edge values
ds_bpermute_b32 v8, v0, v8, offset:12              // permute edge values
s_waitcnt 0                                        // wait for swizzle operation
v_accvgpr_write_b32 acc41, v5                      // 
v_accvgpr_write_b32 acc105, v6                     // 
v_accvgpr_write_b32 acc169, v7                     // 
v_accvgpr_write_b32 acc233, v8                     // 
v_accvgpr_read_b32 v5, acc185                      // glvw 6 mb 0 tt1 39 r 0
v_accvgpr_read_b32 v6, acc249                      // glvw 6 mb 0 tt1 39 r 0
v_accvgpr_read_b32 v7, acc57                       // glvw 6 mb 0 tt1 39 r 0
v_accvgpr_read_b32 v8, acc121                      // glvw 6 mb 0 tt1 39 r 0
s_nop 1                                            // v_accvgpr read vgpr after write vgpr: 2 wait states
ds_bpermute_b32 v5, v0, v5, offset:8               // permute edge values
ds_bpermute_b32 v6, v0, v6, offset:8               // permute edge values
ds_bpermute_b32 v7, v0, v7, offset:12              // permute edge values
ds_bpermute_b32 v8, v0, v8, offset:12              // permute edge values
s_waitcnt 0                                        // wait for swizzle operation
v_accvgpr_write_b32 acc57, v5                      // 
v_accvgpr_write_b32 acc121, v6                     // 
v_accvgpr_write_b32 acc185, v7                     // 
v_accvgpr_write_b32 acc249, v8                     // 
v_accvgpr_read_b32 v5, acc138                      // glvw 6 mb 0 tt1 40 r 0
v_accvgpr_read_b32 v6, acc202                      // glvw 6 mb 0 tt1 40 r 0
v_accvgpr_read_b32 v7, acc10                       // glvw 6 mb 0 tt1 40 r 0
v_accvgpr_read_b32 v8, acc74                       // glvw 6 mb 0 tt1 40 r 0
s_nop 1                                            // v_accvgpr read vgpr after write vgpr: 2 wait states
ds_bpermute_b32 v5, v0, v5, offset:8               // permute edge values
ds_bpermute_b32 v6, v0, v6, offset:8               // permute edge values
ds_bpermute_b32 v7, v0, v7, offset:12              // permute edge values
ds_bpermute_b32 v8, v0, v8, offset:12              // permute edge values
s_waitcnt 0                                        // wait for swizzle operation
v_accvgpr_write_b32 acc10, v5                      // 
v_accvgpr_write_b32 acc74, v6                      // 
v_accvgpr_write_b32 acc138, v7                     // 
v_accvgpr_write_b32 acc202, v8                     // 
v_accvgpr_read_b32 v5, acc154                      // glvw 6 mb 0 tt1 41 r 0
v_accvgpr_read_b32 v6, acc218                      // glvw 6 mb 0 tt1 41 r 0
v_accvgpr_read_b32 v7, acc26                       // glvw 6 mb 0 tt1 41 r 0
v_accvgpr_read_b32 v8, acc90                       // glvw 6 mb 0 tt1 41 r 0
s_nop 1                                            // v_accvgpr read vgpr after write vgpr: 2 wait states
ds_bpermute_b32 v5, v0, v5, offset:8               // permute edge values
ds_bpermute_b32 v6, v0, v6, offset:8               // permute edge values
ds_bpermute_b32 v7, v0, v7, offset:12              // permute edge values
ds_bpermute_b32 v8, v0, v8, offset:12              // permute edge values
s_waitcnt 0                                        // wait for swizzle operation
v_accvgpr_write_b32 acc26, v5                      // 
v_accvgpr_write_b32 acc90, v6                      // 
v_accvgpr_write_b32 acc154, v7                     // 
v_accvgpr_write_b32 acc218, v8                     // 
v_accvgpr_read_b32 v5, acc170                      // glvw 6 mb 0 tt1 42 r 0
v_accvgpr_read_b32 v6, acc234                      // glvw 6 mb 0 tt1 42 r 0
v_accvgpr_read_b32 v7, acc42                       // glvw 6 mb 0 tt1 42 r 0
v_accvgpr_read_b32 v8, acc106                      // glvw 6 mb 0 tt1 42 r 0
s_nop 1                                            // v_accvgpr read vgpr after write vgpr: 2 wait states
ds_bpermute_b32 v5, v0, v5, offset:8               // permute edge values
ds_bpermute_b32 v6, v0, v6, offset:8               // permute edge values
ds_bpermute_b32 v7, v0, v7, offset:12              // permute edge values
ds_bpermute_b32 v8, v0, v8, offset:12              // permute edge values
s_waitcnt 0                                        // wait for swizzle operation
v_accvgpr_write_b32 acc42, v5                      // 
v_accvgpr_write_b32 acc106, v6                     // 
v_accvgpr_write_b32 acc170, v7                     // 
v_accvgpr_write_b32 acc234, v8                     // 
v_accvgpr_read_b32 v5, acc186                      // glvw 6 mb 0 tt1 43 r 0
v_accvgpr_read_b32 v6, acc250                      // glvw 6 mb 0 tt1 43 r 0
v_accvgpr_read_b32 v7, acc58                       // glvw 6 mb 0 tt1 43 r 0
v_accvgpr_read_b32 v8, acc122                      // glvw 6 mb 0 tt1 43 r 0
s_nop 1                                            // v_accvgpr read vgpr after write vgpr: 2 wait states
ds_bpermute_b32 v5, v0, v5, offset:8               // permute edge values
ds_bpermute_b32 v6, v0, v6, offset:8               // permute edge values
ds_bpermute_b32 v7, v0, v7, offset:12              // permute edge values
ds_bpermute_b32 v8, v0, v8, offset:12              // permute edge values
s_waitcnt 0                                        // wait for swizzle operation
v_accvgpr_write_b32 acc58, v5                      // 
v_accvgpr_write_b32 acc122, v6                     // 
v_accvgpr_write_b32 acc186, v7                     // 
v_accvgpr_write_b32 acc250, v8                     // 
v_accvgpr_read_b32 v5, acc139                      // glvw 6 mb 0 tt1 44 r 0
v_accvgpr_read_b32 v6, acc203                      // glvw 6 mb 0 tt1 44 r 0
v_accvgpr_read_b32 v7, acc11                       // glvw 6 mb 0 tt1 44 r 0
v_accvgpr_read_b32 v8, acc75                       // glvw 6 mb 0 tt1 44 r 0
s_nop 1                                            // v_accvgpr read vgpr after write vgpr: 2 wait states
ds_bpermute_b32 v5, v0, v5, offset:8               // permute edge values
ds_bpermute_b32 v6, v0, v6, offset:8               // permute edge values
ds_bpermute_b32 v7, v0, v7, offset:12              // permute edge values
ds_bpermute_b32 v8, v0, v8, offset:12              // permute edge values
s_waitcnt 0                                        // wait for swizzle operation
v_accvgpr_write_b32 acc11, v5                      // 
v_accvgpr_write_b32 acc75, v6                      // 
v_accvgpr_write_b32 acc139, v7                     // 
v_accvgpr_write_b32 acc203, v8                     // 
v_accvgpr_read_b32 v5, acc155                      // glvw 6 mb 0 tt1 45 r 0
v_accvgpr_read_b32 v6, acc219                      // glvw 6 mb 0 tt1 45 r 0
v_accvgpr_read_b32 v7, acc27                       // glvw 6 mb 0 tt1 45 r 0
v_accvgpr_read_b32 v8, acc91                       // glvw 6 mb 0 tt1 45 r 0
s_nop 1                                            // v_accvgpr read vgpr after write vgpr: 2 wait states
ds_bpermute_b32 v5, v0, v5, offset:8               // permute edge values
ds_bpermute_b32 v6, v0, v6, offset:8               // permute edge values
ds_bpermute_b32 v7, v0, v7, offset:12              // permute edge values
ds_bpermute_b32 v8, v0, v8, offset:12              // permute edge values
s_waitcnt 0                                        // wait for swizzle operation
v_accvgpr_write_b32 acc27, v5                      // 
v_accvgpr_write_b32 acc91, v6                      // 
v_accvgpr_write_b32 acc155, v7                     // 
v_accvgpr_write_b32 acc219, v8                     // 
v_accvgpr_read_b32 v5, acc171                      // glvw 6 mb 0 tt1 46 r 0
v_accvgpr_read_b32 v6, acc235                      // glvw 6 mb 0 tt1 46 r 0
v_accvgpr_read_b32 v7, acc43                       // glvw 6 mb 0 tt1 46 r 0
v_accvgpr_read_b32 v8, acc107                      // glvw 6 mb 0 tt1 46 r 0
s_nop 1                                            // v_accvgpr read vgpr after write vgpr: 2 wait states
ds_bpermute_b32 v5, v0, v5, offset:8               // permute edge values
ds_bpermute_b32 v6, v0, v6, offset:8               // permute edge values
ds_bpermute_b32 v7, v0, v7, offset:12              // permute edge values
ds_bpermute_b32 v8, v0, v8, offset:12              // permute edge values
s_waitcnt 0                                        // wait for swizzle operation
v_accvgpr_write_b32 acc43, v5                      // 
v_accvgpr_write_b32 acc107, v6                     // 
v_accvgpr_write_b32 acc171, v7                     // 
v_accvgpr_write_b32 acc235, v8                     // 
v_accvgpr_read_b32 v5, acc187                      // glvw 6 mb 0 tt1 47 r 0
v_accvgpr_read_b32 v6, acc251                      // glvw 6 mb 0 tt1 47 r 0
v_accvgpr_read_b32 v7, acc59                       // glvw 6 mb 0 tt1 47 r 0
v_accvgpr_read_b32 v8, acc123                      // glvw 6 mb 0 tt1 47 r 0
s_nop 1                                            // v_accvgpr read vgpr after write vgpr: 2 wait states
ds_bpermute_b32 v5, v0, v5, offset:8               // permute edge values
ds_bpermute_b32 v6, v0, v6, offset:8               // permute edge values
ds_bpermute_b32 v7, v0, v7, offset:12              // permute edge values
ds_bpermute_b32 v8, v0, v8, offset:12              // permute edge values
s_waitcnt 0                                        // wait for swizzle operation
v_accvgpr_write_b32 acc59, v5                      // 
v_accvgpr_write_b32 acc123, v6                     // 
v_accvgpr_write_b32 acc187, v7                     // 
v_accvgpr_write_b32 acc251, v8                     // 
v_accvgpr_read_b32 v5, acc140                      // glvw 6 mb 0 tt1 48 r 0
v_accvgpr_read_b32 v6, acc204                      // glvw 6 mb 0 tt1 48 r 0
v_accvgpr_read_b32 v7, acc12                       // glvw 6 mb 0 tt1 48 r 0
v_accvgpr_read_b32 v8, acc76                       // glvw 6 mb 0 tt1 48 r 0
s_nop 1                                            // v_accvgpr read vgpr after write vgpr: 2 wait states
ds_bpermute_b32 v5, v0, v5, offset:8               // permute edge values
ds_bpermute_b32 v6, v0, v6, offset:8               // permute edge values
ds_bpermute_b32 v7, v0, v7, offset:12              // permute edge values
ds_bpermute_b32 v8, v0, v8, offset:12              // permute edge values
s_waitcnt 0                                        // wait for swizzle operation
v_accvgpr_write_b32 acc12, v5                      // 
v_accvgpr_write_b32 acc76, v6                      // 
v_accvgpr_write_b32 acc140, v7                     // 
v_accvgpr_write_b32 acc204, v8                     // 
v_accvgpr_read_b32 v5, acc156                      // glvw 6 mb 0 tt1 49 r 0
v_accvgpr_read_b32 v6, acc220                      // glvw 6 mb 0 tt1 49 r 0
v_accvgpr_read_b32 v7, acc28                       // glvw 6 mb 0 tt1 49 r 0
v_accvgpr_read_b32 v8, acc92                       // glvw 6 mb 0 tt1 49 r 0
s_nop 1                                            // v_accvgpr read vgpr after write vgpr: 2 wait states
ds_bpermute_b32 v5, v0, v5, offset:8               // permute edge values
ds_bpermute_b32 v6, v0, v6, offset:8               // permute edge values
ds_bpermute_b32 v7, v0, v7, offset:12              // permute edge values
ds_bpermute_b32 v8, v0, v8, offset:12              // permute edge values
s_waitcnt 0                                        // wait for swizzle operation
v_accvgpr_write_b32 acc28, v5                      // 
v_accvgpr_write_b32 acc92, v6                      // 
v_accvgpr_write_b32 acc156, v7                     // 
v_accvgpr_write_b32 acc220, v8                     // 
v_accvgpr_read_b32 v5, acc172                      // glvw 6 mb 0 tt1 50 r 0
v_accvgpr_read_b32 v6, acc236                      // glvw 6 mb 0 tt1 50 r 0
v_accvgpr_read_b32 v7, acc44                       // glvw 6 mb 0 tt1 50 r 0
v_accvgpr_read_b32 v8, acc108                      // glvw 6 mb 0 tt1 50 r 0
s_nop 1                                            // v_accvgpr read vgpr after write vgpr: 2 wait states
ds_bpermute_b32 v5, v0, v5, offset:8               // permute edge values
ds_bpermute_b32 v6, v0, v6, offset:8               // permute edge values
ds_bpermute_b32 v7, v0, v7, offset:12              // permute edge values
ds_bpermute_b32 v8, v0, v8, offset:12              // permute edge values
s_waitcnt 0                                        // wait for swizzle operation
v_accvgpr_write_b32 acc44, v5                      // 
v_accvgpr_write_b32 acc108, v6                     // 
v_accvgpr_write_b32 acc172, v7                     // 
v_accvgpr_write_b32 acc236, v8                     // 
v_accvgpr_read_b32 v5, acc188                      // glvw 6 mb 0 tt1 51 r 0
v_accvgpr_read_b32 v6, acc252                      // glvw 6 mb 0 tt1 51 r 0
v_accvgpr_read_b32 v7, acc60                       // glvw 6 mb 0 tt1 51 r 0
v_accvgpr_read_b32 v8, acc124                      // glvw 6 mb 0 tt1 51 r 0
s_nop 1                                            // v_accvgpr read vgpr after write vgpr: 2 wait states
ds_bpermute_b32 v5, v0, v5, offset:8               // permute edge values
ds_bpermute_b32 v6, v0, v6, offset:8               // permute edge values
ds_bpermute_b32 v7, v0, v7, offset:12              // permute edge values
ds_bpermute_b32 v8, v0, v8, offset:12              // permute edge values
s_waitcnt 0                                        // wait for swizzle operation
v_accvgpr_write_b32 acc60, v5                      // 
v_accvgpr_write_b32 acc124, v6                     // 
v_accvgpr_write_b32 acc188, v7                     // 
v_accvgpr_write_b32 acc252, v8                     // 
v_accvgpr_read_b32 v5, acc141                      // glvw 6 mb 0 tt1 52 r 0
v_accvgpr_read_b32 v6, acc205                      // glvw 6 mb 0 tt1 52 r 0
v_accvgpr_read_b32 v7, acc13                       // glvw 6 mb 0 tt1 52 r 0
v_accvgpr_read_b32 v8, acc77                       // glvw 6 mb 0 tt1 52 r 0
s_nop 1                                            // v_accvgpr read vgpr after write vgpr: 2 wait states
ds_bpermute_b32 v5, v0, v5, offset:8               // permute edge values
ds_bpermute_b32 v6, v0, v6, offset:8               // permute edge values
ds_bpermute_b32 v7, v0, v7, offset:12              // permute edge values
ds_bpermute_b32 v8, v0, v8, offset:12              // permute edge values
s_waitcnt 0                                        // wait for swizzle operation
v_accvgpr_write_b32 acc13, v5                      // 
v_accvgpr_write_b32 acc77, v6                      // 
v_accvgpr_write_b32 acc141, v7                     // 
v_accvgpr_write_b32 acc205, v8                     // 
v_accvgpr_read_b32 v5, acc157                      // glvw 6 mb 0 tt1 53 r 0
v_accvgpr_read_b32 v6, acc221                      // glvw 6 mb 0 tt1 53 r 0
v_accvgpr_read_b32 v7, acc29                       // glvw 6 mb 0 tt1 53 r 0
v_accvgpr_read_b32 v8, acc93                       // glvw 6 mb 0 tt1 53 r 0
s_nop 1                                            // v_accvgpr read vgpr after write vgpr: 2 wait states
ds_bpermute_b32 v5, v0, v5, offset:8               // permute edge values
ds_bpermute_b32 v6, v0, v6, offset:8               // permute edge values
ds_bpermute_b32 v7, v0, v7, offset:12              // permute edge values
ds_bpermute_b32 v8, v0, v8, offset:12              // permute edge values
s_waitcnt 0                                        // wait for swizzle operation
v_accvgpr_write_b32 acc29, v5                      // 
v_accvgpr_write_b32 acc93, v6                      // 
v_accvgpr_write_b32 acc157, v7                     // 
v_accvgpr_write_b32 acc221, v8                     // 
v_accvgpr_read_b32 v5, acc173                      // glvw 6 mb 0 tt1 54 r 0
v_accvgpr_read_b32 v6, acc237                      // glvw 6 mb 0 tt1 54 r 0
v_accvgpr_read_b32 v7, acc45                       // glvw 6 mb 0 tt1 54 r 0
v_accvgpr_read_b32 v8, acc109                      // glvw 6 mb 0 tt1 54 r 0
s_nop 1                                            // v_accvgpr read vgpr after write vgpr: 2 wait states
ds_bpermute_b32 v5, v0, v5, offset:8               // permute edge values
ds_bpermute_b32 v6, v0, v6, offset:8               // permute edge values
ds_bpermute_b32 v7, v0, v7, offset:12              // permute edge values
ds_bpermute_b32 v8, v0, v8, offset:12              // permute edge values
s_waitcnt 0                                        // wait for swizzle operation
v_accvgpr_write_b32 acc45, v5                      // 
v_accvgpr_write_b32 acc109, v6                     // 
v_accvgpr_write_b32 acc173, v7                     // 
v_accvgpr_write_b32 acc237, v8                     // 
v_accvgpr_read_b32 v5, acc189                      // glvw 6 mb 0 tt1 55 r 0
v_accvgpr_read_b32 v6, acc253                      // glvw 6 mb 0 tt1 55 r 0
v_accvgpr_read_b32 v7, acc61                       // glvw 6 mb 0 tt1 55 r 0
v_accvgpr_read_b32 v8, acc125                      // glvw 6 mb 0 tt1 55 r 0
s_nop 1                                            // v_accvgpr read vgpr after write vgpr: 2 wait states
ds_bpermute_b32 v5, v0, v5, offset:8               // permute edge values
ds_bpermute_b32 v6, v0, v6, offset:8               // permute edge values
ds_bpermute_b32 v7, v0, v7, offset:12              // permute edge values
ds_bpermute_b32 v8, v0, v8, offset:12              // permute edge values
s_waitcnt 0                                        // wait for swizzle operation
v_accvgpr_write_b32 acc61, v5                      // 
v_accvgpr_write_b32 acc125, v6                     // 
v_accvgpr_write_b32 acc189, v7                     // 
v_accvgpr_write_b32 acc253, v8                     // 
v_accvgpr_read_b32 v5, acc142                      // glvw 6 mb 0 tt1 56 r 0
v_accvgpr_read_b32 v6, acc206                      // glvw 6 mb 0 tt1 56 r 0
v_accvgpr_read_b32 v7, acc14                       // glvw 6 mb 0 tt1 56 r 0
v_accvgpr_read_b32 v8, acc78                       // glvw 6 mb 0 tt1 56 r 0
s_nop 1                                            // v_accvgpr read vgpr after write vgpr: 2 wait states
ds_bpermute_b32 v5, v0, v5, offset:8               // permute edge values
ds_bpermute_b32 v6, v0, v6, offset:8               // permute edge values
ds_bpermute_b32 v7, v0, v7, offset:12              // permute edge values
ds_bpermute_b32 v8, v0, v8, offset:12              // permute edge values
s_waitcnt 0                                        // wait for swizzle operation
v_accvgpr_write_b32 acc14, v5                      // 
v_accvgpr_write_b32 acc78, v6                      // 
v_accvgpr_write_b32 acc142, v7                     // 
v_accvgpr_write_b32 acc206, v8                     // 
v_accvgpr_read_b32 v5, acc158                      // glvw 6 mb 0 tt1 57 r 0
v_accvgpr_read_b32 v6, acc222                      // glvw 6 mb 0 tt1 57 r 0
v_accvgpr_read_b32 v7, acc30                       // glvw 6 mb 0 tt1 57 r 0
v_accvgpr_read_b32 v8, acc94                       // glvw 6 mb 0 tt1 57 r 0
s_nop 1                                            // v_accvgpr read vgpr after write vgpr: 2 wait states
ds_bpermute_b32 v5, v0, v5, offset:8               // permute edge values
ds_bpermute_b32 v6, v0, v6, offset:8               // permute edge values
ds_bpermute_b32 v7, v0, v7, offset:12              // permute edge values
ds_bpermute_b32 v8, v0, v8, offset:12              // permute edge values
s_waitcnt 0                                        // wait for swizzle operation
v_accvgpr_write_b32 acc30, v5                      // 
v_accvgpr_write_b32 acc94, v6                      // 
v_accvgpr_write_b32 acc158, v7                     // 
v_accvgpr_write_b32 acc222, v8                     // 
v_accvgpr_read_b32 v5, acc174                      // glvw 6 mb 0 tt1 58 r 0
v_accvgpr_read_b32 v6, acc238                      // glvw 6 mb 0 tt1 58 r 0
v_accvgpr_read_b32 v7, acc46                       // glvw 6 mb 0 tt1 58 r 0
v_accvgpr_read_b32 v8, acc110                      // glvw 6 mb 0 tt1 58 r 0
s_nop 1                                            // v_accvgpr read vgpr after write vgpr: 2 wait states
ds_bpermute_b32 v5, v0, v5, offset:8               // permute edge values
ds_bpermute_b32 v6, v0, v6, offset:8               // permute edge values
ds_bpermute_b32 v7, v0, v7, offset:12              // permute edge values
ds_bpermute_b32 v8, v0, v8, offset:12              // permute edge values
s_waitcnt 0                                        // wait for swizzle operation
v_accvgpr_write_b32 acc46, v5                      // 
v_accvgpr_write_b32 acc110, v6                     // 
v_accvgpr_write_b32 acc174, v7                     // 
v_accvgpr_write_b32 acc238, v8                     // 
v_accvgpr_read_b32 v5, acc190                      // glvw 6 mb 0 tt1 59 r 0
v_accvgpr_read_b32 v6, acc254                      // glvw 6 mb 0 tt1 59 r 0
v_accvgpr_read_b32 v7, acc62                       // glvw 6 mb 0 tt1 59 r 0
v_accvgpr_read_b32 v8, acc126                      // glvw 6 mb 0 tt1 59 r 0
s_nop 1                                            // v_accvgpr read vgpr after write vgpr: 2 wait states
ds_bpermute_b32 v5, v0, v5, offset:8               // permute edge values
ds_bpermute_b32 v6, v0, v6, offset:8               // permute edge values
ds_bpermute_b32 v7, v0, v7, offset:12              // permute edge values
ds_bpermute_b32 v8, v0, v8, offset:12              // permute edge values
s_waitcnt 0                                        // wait for swizzle operation
v_accvgpr_write_b32 acc62, v5                      // 
v_accvgpr_write_b32 acc126, v6                     // 
v_accvgpr_write_b32 acc190, v7                     // 
v_accvgpr_write_b32 acc254, v8                     // 
v_accvgpr_read_b32 v5, acc143                      // glvw 6 mb 0 tt1 60 r 0
v_accvgpr_read_b32 v6, acc207                      // glvw 6 mb 0 tt1 60 r 0
v_accvgpr_read_b32 v7, acc15                       // glvw 6 mb 0 tt1 60 r 0
v_accvgpr_read_b32 v8, acc79                       // glvw 6 mb 0 tt1 60 r 0
s_nop 1                                            // v_accvgpr read vgpr after write vgpr: 2 wait states
ds_bpermute_b32 v5, v0, v5, offset:8               // permute edge values
ds_bpermute_b32 v6, v0, v6, offset:8               // permute edge values
ds_bpermute_b32 v7, v0, v7, offset:12              // permute edge values
ds_bpermute_b32 v8, v0, v8, offset:12              // permute edge values
s_waitcnt 0                                        // wait for swizzle operation
v_accvgpr_write_b32 acc15, v5                      // 
v_accvgpr_write_b32 acc79, v6                      // 
v_accvgpr_write_b32 acc143, v7                     // 
v_accvgpr_write_b32 acc207, v8                     // 
v_accvgpr_read_b32 v5, acc159                      // glvw 6 mb 0 tt1 61 r 0
v_accvgpr_read_b32 v6, acc223                      // glvw 6 mb 0 tt1 61 r 0
v_accvgpr_read_b32 v7, acc31                       // glvw 6 mb 0 tt1 61 r 0
v_accvgpr_read_b32 v8, acc95                       // glvw 6 mb 0 tt1 61 r 0
s_nop 1                                            // v_accvgpr read vgpr after write vgpr: 2 wait states
ds_bpermute_b32 v5, v0, v5, offset:8               // permute edge values
ds_bpermute_b32 v6, v0, v6, offset:8               // permute edge values
ds_bpermute_b32 v7, v0, v7, offset:12              // permute edge values
ds_bpermute_b32 v8, v0, v8, offset:12              // permute edge values
s_waitcnt 0                                        // wait for swizzle operation
v_accvgpr_write_b32 acc31, v5                      // 
v_accvgpr_write_b32 acc95, v6                      // 
v_accvgpr_write_b32 acc159, v7                     // 
v_accvgpr_write_b32 acc223, v8                     // 
v_accvgpr_read_b32 v5, acc175                      // glvw 6 mb 0 tt1 62 r 0
v_accvgpr_read_b32 v6, acc239                      // glvw 6 mb 0 tt1 62 r 0
v_accvgpr_read_b32 v7, acc47                       // glvw 6 mb 0 tt1 62 r 0
v_accvgpr_read_b32 v8, acc111                      // glvw 6 mb 0 tt1 62 r 0
s_nop 1                                            // v_accvgpr read vgpr after write vgpr: 2 wait states
ds_bpermute_b32 v5, v0, v5, offset:8               // permute edge values
ds_bpermute_b32 v6, v0, v6, offset:8               // permute edge values
ds_bpermute_b32 v7, v0, v7, offset:12              // permute edge values
ds_bpermute_b32 v8, v0, v8, offset:12              // permute edge values
s_waitcnt 0                                        // wait for swizzle operation
v_accvgpr_write_b32 acc47, v5                      // 
v_accvgpr_write_b32 acc111, v6                     // 
v_accvgpr_write_b32 acc175, v7                     // 
v_accvgpr_write_b32 acc239, v8                     // 
v_accvgpr_read_b32 v5, acc191                      // glvw 6 mb 0 tt1 63 r 0
v_accvgpr_read_b32 v6, acc255                      // glvw 6 mb 0 tt1 63 r 0
v_accvgpr_read_b32 v7, acc63                       // glvw 6 mb 0 tt1 63 r 0
v_accvgpr_read_b32 v8, acc127                      // glvw 6 mb 0 tt1 63 r 0
s_nop 1                                            // v_accvgpr read vgpr after write vgpr: 2 wait states
ds_bpermute_b32 v5, v0, v5, offset:8               // permute edge values
ds_bpermute_b32 v6, v0, v6, offset:8               // permute edge values
ds_bpermute_b32 v7, v0, v7, offset:12              // permute edge values
ds_bpermute_b32 v8, v0, v8, offset:12              // permute edge values
s_waitcnt 0                                        // wait for swizzle operation
v_accvgpr_write_b32 acc63, v5                      // 
v_accvgpr_write_b32 acc127, v6                     // 
v_accvgpr_write_b32 acc191, v7                     // 
v_accvgpr_write_b32 acc255, v8                     // 
s_mov_b64 s[42:43], 0xFFFFFFFFFFFFFFFF             // to restore all threads active
s_or_saveexec_b64 vcc, s[42:43]                    // all threads active
s_branch label_0222                                // done shifting


/******************************************/
/* shift d1 r=7 mb=0 vw0                  */
/******************************************/
label_0197: // r7 mb0 vw0 
s_mov_b32 s42, 0                                   // 
_v_cmpx_eq_u32 s[42:43], v4, s42                   // is thread in edge glvw region
v_and_b32 v0, 63, v[vgprSerial]                    // permute register between threads
v_lshlrev_b32 v0, 2, v0                            // permute register between threads
v_accvgpr_read_b32 v5, acc64                       // glvw 7 mb 0 tt1 0 r 0
v_accvgpr_read_b32 v6, acc128                      // glvw 7 mb 0 tt1 0 r 0
v_accvgpr_read_b32 v7, acc192                      // glvw 7 mb 0 tt1 0 r 0
v_accvgpr_read_b32 v8, acc0                        // glvw 7 mb 0 tt1 0 r 0
s_nop 1                                            // v_accvgpr read vgpr after write vgpr: 2 wait states
ds_bpermute_b32 v5, v0, v5, offset:8               // permute edge values
ds_bpermute_b32 v6, v0, v6, offset:8               // permute edge values
ds_bpermute_b32 v7, v0, v7, offset:8               // permute edge values
ds_bpermute_b32 v8, v0, v8, offset:12              // permute edge values
s_waitcnt 0                                        // wait for swizzle operation
v_accvgpr_write_b32 acc0, v5                       // 
v_accvgpr_write_b32 acc64, v6                      // 
v_accvgpr_write_b32 acc128, v7                     // 
v_accvgpr_write_b32 acc192, v8                     // 
v_accvgpr_read_b32 v5, acc80                       // glvw 7 mb 0 tt1 1 r 0
v_accvgpr_read_b32 v6, acc144                      // glvw 7 mb 0 tt1 1 r 0
v_accvgpr_read_b32 v7, acc208                      // glvw 7 mb 0 tt1 1 r 0
v_accvgpr_read_b32 v8, acc16                       // glvw 7 mb 0 tt1 1 r 0
s_nop 1                                            // v_accvgpr read vgpr after write vgpr: 2 wait states
ds_bpermute_b32 v5, v0, v5, offset:8               // permute edge values
ds_bpermute_b32 v6, v0, v6, offset:8               // permute edge values
	;; [unrolled: 1-line block ×3, first 2 shown]
ds_bpermute_b32 v8, v0, v8, offset:12              // permute edge values
s_waitcnt 0                                        // wait for swizzle operation
v_accvgpr_write_b32 acc16, v5                      // 
v_accvgpr_write_b32 acc80, v6                      // 
v_accvgpr_write_b32 acc144, v7                     // 
v_accvgpr_write_b32 acc208, v8                     // 
v_accvgpr_read_b32 v5, acc96                       // glvw 7 mb 0 tt1 2 r 0
v_accvgpr_read_b32 v6, acc160                      // glvw 7 mb 0 tt1 2 r 0
v_accvgpr_read_b32 v7, acc224                      // glvw 7 mb 0 tt1 2 r 0
v_accvgpr_read_b32 v8, acc32                       // glvw 7 mb 0 tt1 2 r 0
s_nop 1                                            // v_accvgpr read vgpr after write vgpr: 2 wait states
ds_bpermute_b32 v5, v0, v5, offset:8               // permute edge values
ds_bpermute_b32 v6, v0, v6, offset:8               // permute edge values
ds_bpermute_b32 v7, v0, v7, offset:8               // permute edge values
ds_bpermute_b32 v8, v0, v8, offset:12              // permute edge values
s_waitcnt 0                                        // wait for swizzle operation
v_accvgpr_write_b32 acc32, v5                      // 
v_accvgpr_write_b32 acc96, v6                      // 
v_accvgpr_write_b32 acc160, v7                     // 
v_accvgpr_write_b32 acc224, v8                     // 
v_accvgpr_read_b32 v5, acc112                      // glvw 7 mb 0 tt1 3 r 0
v_accvgpr_read_b32 v6, acc176                      // glvw 7 mb 0 tt1 3 r 0
v_accvgpr_read_b32 v7, acc240                      // glvw 7 mb 0 tt1 3 r 0
v_accvgpr_read_b32 v8, acc48                       // glvw 7 mb 0 tt1 3 r 0
s_nop 1                                            // v_accvgpr read vgpr after write vgpr: 2 wait states
ds_bpermute_b32 v5, v0, v5, offset:8               // permute edge values
ds_bpermute_b32 v6, v0, v6, offset:8               // permute edge values
	;; [unrolled: 1-line block ×3, first 2 shown]
ds_bpermute_b32 v8, v0, v8, offset:12              // permute edge values
s_waitcnt 0                                        // wait for swizzle operation
v_accvgpr_write_b32 acc48, v5                      // 
v_accvgpr_write_b32 acc112, v6                     // 
v_accvgpr_write_b32 acc176, v7                     // 
v_accvgpr_write_b32 acc240, v8                     // 
v_accvgpr_read_b32 v5, acc65                       // glvw 7 mb 0 tt1 4 r 0
v_accvgpr_read_b32 v6, acc129                      // glvw 7 mb 0 tt1 4 r 0
v_accvgpr_read_b32 v7, acc193                      // glvw 7 mb 0 tt1 4 r 0
v_accvgpr_read_b32 v8, acc1                        // glvw 7 mb 0 tt1 4 r 0
s_nop 1                                            // v_accvgpr read vgpr after write vgpr: 2 wait states
ds_bpermute_b32 v5, v0, v5, offset:8               // permute edge values
ds_bpermute_b32 v6, v0, v6, offset:8               // permute edge values
	;; [unrolled: 1-line block ×3, first 2 shown]
ds_bpermute_b32 v8, v0, v8, offset:12              // permute edge values
s_waitcnt 0                                        // wait for swizzle operation
v_accvgpr_write_b32 acc1, v5                       // 
v_accvgpr_write_b32 acc65, v6                      // 
v_accvgpr_write_b32 acc129, v7                     // 
v_accvgpr_write_b32 acc193, v8                     // 
v_accvgpr_read_b32 v5, acc81                       // glvw 7 mb 0 tt1 5 r 0
v_accvgpr_read_b32 v6, acc145                      // glvw 7 mb 0 tt1 5 r 0
v_accvgpr_read_b32 v7, acc209                      // glvw 7 mb 0 tt1 5 r 0
v_accvgpr_read_b32 v8, acc17                       // glvw 7 mb 0 tt1 5 r 0
s_nop 1                                            // v_accvgpr read vgpr after write vgpr: 2 wait states
ds_bpermute_b32 v5, v0, v5, offset:8               // permute edge values
ds_bpermute_b32 v6, v0, v6, offset:8               // permute edge values
	;; [unrolled: 1-line block ×3, first 2 shown]
ds_bpermute_b32 v8, v0, v8, offset:12              // permute edge values
s_waitcnt 0                                        // wait for swizzle operation
v_accvgpr_write_b32 acc17, v5                      // 
v_accvgpr_write_b32 acc81, v6                      // 
v_accvgpr_write_b32 acc145, v7                     // 
v_accvgpr_write_b32 acc209, v8                     // 
v_accvgpr_read_b32 v5, acc97                       // glvw 7 mb 0 tt1 6 r 0
v_accvgpr_read_b32 v6, acc161                      // glvw 7 mb 0 tt1 6 r 0
v_accvgpr_read_b32 v7, acc225                      // glvw 7 mb 0 tt1 6 r 0
v_accvgpr_read_b32 v8, acc33                       // glvw 7 mb 0 tt1 6 r 0
s_nop 1                                            // v_accvgpr read vgpr after write vgpr: 2 wait states
ds_bpermute_b32 v5, v0, v5, offset:8               // permute edge values
ds_bpermute_b32 v6, v0, v6, offset:8               // permute edge values
ds_bpermute_b32 v7, v0, v7, offset:8               // permute edge values
ds_bpermute_b32 v8, v0, v8, offset:12              // permute edge values
s_waitcnt 0                                        // wait for swizzle operation
v_accvgpr_write_b32 acc33, v5                      // 
v_accvgpr_write_b32 acc97, v6                      // 
v_accvgpr_write_b32 acc161, v7                     // 
v_accvgpr_write_b32 acc225, v8                     // 
v_accvgpr_read_b32 v5, acc113                      // glvw 7 mb 0 tt1 7 r 0
v_accvgpr_read_b32 v6, acc177                      // glvw 7 mb 0 tt1 7 r 0
v_accvgpr_read_b32 v7, acc241                      // glvw 7 mb 0 tt1 7 r 0
v_accvgpr_read_b32 v8, acc49                       // glvw 7 mb 0 tt1 7 r 0
s_nop 1                                            // v_accvgpr read vgpr after write vgpr: 2 wait states
ds_bpermute_b32 v5, v0, v5, offset:8               // permute edge values
ds_bpermute_b32 v6, v0, v6, offset:8               // permute edge values
	;; [unrolled: 1-line block ×3, first 2 shown]
ds_bpermute_b32 v8, v0, v8, offset:12              // permute edge values
s_waitcnt 0                                        // wait for swizzle operation
v_accvgpr_write_b32 acc49, v5                      // 
v_accvgpr_write_b32 acc113, v6                     // 
v_accvgpr_write_b32 acc177, v7                     // 
v_accvgpr_write_b32 acc241, v8                     // 
v_accvgpr_read_b32 v5, acc66                       // glvw 7 mb 0 tt1 8 r 0
v_accvgpr_read_b32 v6, acc130                      // glvw 7 mb 0 tt1 8 r 0
v_accvgpr_read_b32 v7, acc194                      // glvw 7 mb 0 tt1 8 r 0
v_accvgpr_read_b32 v8, acc2                        // glvw 7 mb 0 tt1 8 r 0
s_nop 1                                            // v_accvgpr read vgpr after write vgpr: 2 wait states
ds_bpermute_b32 v5, v0, v5, offset:8               // permute edge values
ds_bpermute_b32 v6, v0, v6, offset:8               // permute edge values
	;; [unrolled: 1-line block ×3, first 2 shown]
ds_bpermute_b32 v8, v0, v8, offset:12              // permute edge values
s_waitcnt 0                                        // wait for swizzle operation
v_accvgpr_write_b32 acc2, v5                       // 
v_accvgpr_write_b32 acc66, v6                      // 
v_accvgpr_write_b32 acc130, v7                     // 
v_accvgpr_write_b32 acc194, v8                     // 
v_accvgpr_read_b32 v5, acc82                       // glvw 7 mb 0 tt1 9 r 0
v_accvgpr_read_b32 v6, acc146                      // glvw 7 mb 0 tt1 9 r 0
v_accvgpr_read_b32 v7, acc210                      // glvw 7 mb 0 tt1 9 r 0
v_accvgpr_read_b32 v8, acc18                       // glvw 7 mb 0 tt1 9 r 0
s_nop 1                                            // v_accvgpr read vgpr after write vgpr: 2 wait states
ds_bpermute_b32 v5, v0, v5, offset:8               // permute edge values
ds_bpermute_b32 v6, v0, v6, offset:8               // permute edge values
	;; [unrolled: 1-line block ×3, first 2 shown]
ds_bpermute_b32 v8, v0, v8, offset:12              // permute edge values
s_waitcnt 0                                        // wait for swizzle operation
v_accvgpr_write_b32 acc18, v5                      // 
v_accvgpr_write_b32 acc82, v6                      // 
v_accvgpr_write_b32 acc146, v7                     // 
v_accvgpr_write_b32 acc210, v8                     // 
v_accvgpr_read_b32 v5, acc98                       // glvw 7 mb 0 tt1 10 r 0
v_accvgpr_read_b32 v6, acc162                      // glvw 7 mb 0 tt1 10 r 0
v_accvgpr_read_b32 v7, acc226                      // glvw 7 mb 0 tt1 10 r 0
v_accvgpr_read_b32 v8, acc34                       // glvw 7 mb 0 tt1 10 r 0
s_nop 1                                            // v_accvgpr read vgpr after write vgpr: 2 wait states
ds_bpermute_b32 v5, v0, v5, offset:8               // permute edge values
ds_bpermute_b32 v6, v0, v6, offset:8               // permute edge values
	;; [unrolled: 1-line block ×3, first 2 shown]
ds_bpermute_b32 v8, v0, v8, offset:12              // permute edge values
s_waitcnt 0                                        // wait for swizzle operation
v_accvgpr_write_b32 acc34, v5                      // 
v_accvgpr_write_b32 acc98, v6                      // 
v_accvgpr_write_b32 acc162, v7                     // 
v_accvgpr_write_b32 acc226, v8                     // 
v_accvgpr_read_b32 v5, acc114                      // glvw 7 mb 0 tt1 11 r 0
v_accvgpr_read_b32 v6, acc178                      // glvw 7 mb 0 tt1 11 r 0
v_accvgpr_read_b32 v7, acc242                      // glvw 7 mb 0 tt1 11 r 0
v_accvgpr_read_b32 v8, acc50                       // glvw 7 mb 0 tt1 11 r 0
s_nop 1                                            // v_accvgpr read vgpr after write vgpr: 2 wait states
ds_bpermute_b32 v5, v0, v5, offset:8               // permute edge values
ds_bpermute_b32 v6, v0, v6, offset:8               // permute edge values
ds_bpermute_b32 v7, v0, v7, offset:8               // permute edge values
ds_bpermute_b32 v8, v0, v8, offset:12              // permute edge values
s_waitcnt 0                                        // wait for swizzle operation
v_accvgpr_write_b32 acc50, v5                      // 
v_accvgpr_write_b32 acc114, v6                     // 
v_accvgpr_write_b32 acc178, v7                     // 
v_accvgpr_write_b32 acc242, v8                     // 
v_accvgpr_read_b32 v5, acc67                       // glvw 7 mb 0 tt1 12 r 0
v_accvgpr_read_b32 v6, acc131                      // glvw 7 mb 0 tt1 12 r 0
v_accvgpr_read_b32 v7, acc195                      // glvw 7 mb 0 tt1 12 r 0
v_accvgpr_read_b32 v8, acc3                        // glvw 7 mb 0 tt1 12 r 0
s_nop 1                                            // v_accvgpr read vgpr after write vgpr: 2 wait states
ds_bpermute_b32 v5, v0, v5, offset:8               // permute edge values
ds_bpermute_b32 v6, v0, v6, offset:8               // permute edge values
	;; [unrolled: 1-line block ×3, first 2 shown]
ds_bpermute_b32 v8, v0, v8, offset:12              // permute edge values
s_waitcnt 0                                        // wait for swizzle operation
v_accvgpr_write_b32 acc3, v5                       // 
v_accvgpr_write_b32 acc67, v6                      // 
v_accvgpr_write_b32 acc131, v7                     // 
v_accvgpr_write_b32 acc195, v8                     // 
v_accvgpr_read_b32 v5, acc83                       // glvw 7 mb 0 tt1 13 r 0
v_accvgpr_read_b32 v6, acc147                      // glvw 7 mb 0 tt1 13 r 0
v_accvgpr_read_b32 v7, acc211                      // glvw 7 mb 0 tt1 13 r 0
v_accvgpr_read_b32 v8, acc19                       // glvw 7 mb 0 tt1 13 r 0
s_nop 1                                            // v_accvgpr read vgpr after write vgpr: 2 wait states
ds_bpermute_b32 v5, v0, v5, offset:8               // permute edge values
ds_bpermute_b32 v6, v0, v6, offset:8               // permute edge values
	;; [unrolled: 1-line block ×3, first 2 shown]
ds_bpermute_b32 v8, v0, v8, offset:12              // permute edge values
s_waitcnt 0                                        // wait for swizzle operation
v_accvgpr_write_b32 acc19, v5                      // 
v_accvgpr_write_b32 acc83, v6                      // 
v_accvgpr_write_b32 acc147, v7                     // 
v_accvgpr_write_b32 acc211, v8                     // 
v_accvgpr_read_b32 v5, acc99                       // glvw 7 mb 0 tt1 14 r 0
v_accvgpr_read_b32 v6, acc163                      // glvw 7 mb 0 tt1 14 r 0
v_accvgpr_read_b32 v7, acc227                      // glvw 7 mb 0 tt1 14 r 0
v_accvgpr_read_b32 v8, acc35                       // glvw 7 mb 0 tt1 14 r 0
s_nop 1                                            // v_accvgpr read vgpr after write vgpr: 2 wait states
ds_bpermute_b32 v5, v0, v5, offset:8               // permute edge values
ds_bpermute_b32 v6, v0, v6, offset:8               // permute edge values
	;; [unrolled: 1-line block ×3, first 2 shown]
ds_bpermute_b32 v8, v0, v8, offset:12              // permute edge values
s_waitcnt 0                                        // wait for swizzle operation
v_accvgpr_write_b32 acc35, v5                      // 
v_accvgpr_write_b32 acc99, v6                      // 
v_accvgpr_write_b32 acc163, v7                     // 
v_accvgpr_write_b32 acc227, v8                     // 
v_accvgpr_read_b32 v5, acc115                      // glvw 7 mb 0 tt1 15 r 0
v_accvgpr_read_b32 v6, acc179                      // glvw 7 mb 0 tt1 15 r 0
v_accvgpr_read_b32 v7, acc243                      // glvw 7 mb 0 tt1 15 r 0
v_accvgpr_read_b32 v8, acc51                       // glvw 7 mb 0 tt1 15 r 0
s_nop 1                                            // v_accvgpr read vgpr after write vgpr: 2 wait states
ds_bpermute_b32 v5, v0, v5, offset:8               // permute edge values
ds_bpermute_b32 v6, v0, v6, offset:8               // permute edge values
	;; [unrolled: 1-line block ×3, first 2 shown]
ds_bpermute_b32 v8, v0, v8, offset:12              // permute edge values
s_waitcnt 0                                        // wait for swizzle operation
v_accvgpr_write_b32 acc51, v5                      // 
v_accvgpr_write_b32 acc115, v6                     // 
v_accvgpr_write_b32 acc179, v7                     // 
v_accvgpr_write_b32 acc243, v8                     // 
v_accvgpr_read_b32 v5, acc68                       // glvw 7 mb 0 tt1 16 r 0
v_accvgpr_read_b32 v6, acc132                      // glvw 7 mb 0 tt1 16 r 0
v_accvgpr_read_b32 v7, acc196                      // glvw 7 mb 0 tt1 16 r 0
v_accvgpr_read_b32 v8, acc4                        // glvw 7 mb 0 tt1 16 r 0
s_nop 1                                            // v_accvgpr read vgpr after write vgpr: 2 wait states
ds_bpermute_b32 v5, v0, v5, offset:8               // permute edge values
ds_bpermute_b32 v6, v0, v6, offset:8               // permute edge values
ds_bpermute_b32 v7, v0, v7, offset:8               // permute edge values
ds_bpermute_b32 v8, v0, v8, offset:12              // permute edge values
s_waitcnt 0                                        // wait for swizzle operation
v_accvgpr_write_b32 acc4, v5                       // 
v_accvgpr_write_b32 acc68, v6                      // 
v_accvgpr_write_b32 acc132, v7                     // 
v_accvgpr_write_b32 acc196, v8                     // 
v_accvgpr_read_b32 v5, acc84                       // glvw 7 mb 0 tt1 17 r 0
v_accvgpr_read_b32 v6, acc148                      // glvw 7 mb 0 tt1 17 r 0
v_accvgpr_read_b32 v7, acc212                      // glvw 7 mb 0 tt1 17 r 0
v_accvgpr_read_b32 v8, acc20                       // glvw 7 mb 0 tt1 17 r 0
s_nop 1                                            // v_accvgpr read vgpr after write vgpr: 2 wait states
ds_bpermute_b32 v5, v0, v5, offset:8               // permute edge values
ds_bpermute_b32 v6, v0, v6, offset:8               // permute edge values
	;; [unrolled: 1-line block ×3, first 2 shown]
ds_bpermute_b32 v8, v0, v8, offset:12              // permute edge values
s_waitcnt 0                                        // wait for swizzle operation
v_accvgpr_write_b32 acc20, v5                      // 
v_accvgpr_write_b32 acc84, v6                      // 
v_accvgpr_write_b32 acc148, v7                     // 
v_accvgpr_write_b32 acc212, v8                     // 
v_accvgpr_read_b32 v5, acc100                      // glvw 7 mb 0 tt1 18 r 0
v_accvgpr_read_b32 v6, acc164                      // glvw 7 mb 0 tt1 18 r 0
v_accvgpr_read_b32 v7, acc228                      // glvw 7 mb 0 tt1 18 r 0
v_accvgpr_read_b32 v8, acc36                       // glvw 7 mb 0 tt1 18 r 0
s_nop 1                                            // v_accvgpr read vgpr after write vgpr: 2 wait states
ds_bpermute_b32 v5, v0, v5, offset:8               // permute edge values
ds_bpermute_b32 v6, v0, v6, offset:8               // permute edge values
	;; [unrolled: 1-line block ×3, first 2 shown]
ds_bpermute_b32 v8, v0, v8, offset:12              // permute edge values
s_waitcnt 0                                        // wait for swizzle operation
v_accvgpr_write_b32 acc36, v5                      // 
v_accvgpr_write_b32 acc100, v6                     // 
v_accvgpr_write_b32 acc164, v7                     // 
v_accvgpr_write_b32 acc228, v8                     // 
v_accvgpr_read_b32 v5, acc116                      // glvw 7 mb 0 tt1 19 r 0
v_accvgpr_read_b32 v6, acc180                      // glvw 7 mb 0 tt1 19 r 0
v_accvgpr_read_b32 v7, acc244                      // glvw 7 mb 0 tt1 19 r 0
v_accvgpr_read_b32 v8, acc52                       // glvw 7 mb 0 tt1 19 r 0
s_nop 1                                            // v_accvgpr read vgpr after write vgpr: 2 wait states
ds_bpermute_b32 v5, v0, v5, offset:8               // permute edge values
ds_bpermute_b32 v6, v0, v6, offset:8               // permute edge values
	;; [unrolled: 1-line block ×3, first 2 shown]
ds_bpermute_b32 v8, v0, v8, offset:12              // permute edge values
s_waitcnt 0                                        // wait for swizzle operation
v_accvgpr_write_b32 acc52, v5                      // 
v_accvgpr_write_b32 acc116, v6                     // 
v_accvgpr_write_b32 acc180, v7                     // 
v_accvgpr_write_b32 acc244, v8                     // 
v_accvgpr_read_b32 v5, acc69                       // glvw 7 mb 0 tt1 20 r 0
v_accvgpr_read_b32 v6, acc133                      // glvw 7 mb 0 tt1 20 r 0
v_accvgpr_read_b32 v7, acc197                      // glvw 7 mb 0 tt1 20 r 0
v_accvgpr_read_b32 v8, acc5                        // glvw 7 mb 0 tt1 20 r 0
s_nop 1                                            // v_accvgpr read vgpr after write vgpr: 2 wait states
ds_bpermute_b32 v5, v0, v5, offset:8               // permute edge values
ds_bpermute_b32 v6, v0, v6, offset:8               // permute edge values
	;; [unrolled: 1-line block ×3, first 2 shown]
ds_bpermute_b32 v8, v0, v8, offset:12              // permute edge values
s_waitcnt 0                                        // wait for swizzle operation
v_accvgpr_write_b32 acc5, v5                       // 
v_accvgpr_write_b32 acc69, v6                      // 
v_accvgpr_write_b32 acc133, v7                     // 
v_accvgpr_write_b32 acc197, v8                     // 
v_accvgpr_read_b32 v5, acc85                       // glvw 7 mb 0 tt1 21 r 0
v_accvgpr_read_b32 v6, acc149                      // glvw 7 mb 0 tt1 21 r 0
v_accvgpr_read_b32 v7, acc213                      // glvw 7 mb 0 tt1 21 r 0
v_accvgpr_read_b32 v8, acc21                       // glvw 7 mb 0 tt1 21 r 0
s_nop 1                                            // v_accvgpr read vgpr after write vgpr: 2 wait states
ds_bpermute_b32 v5, v0, v5, offset:8               // permute edge values
ds_bpermute_b32 v6, v0, v6, offset:8               // permute edge values
	;; [unrolled: 1-line block ×3, first 2 shown]
ds_bpermute_b32 v8, v0, v8, offset:12              // permute edge values
s_waitcnt 0                                        // wait for swizzle operation
v_accvgpr_write_b32 acc21, v5                      // 
v_accvgpr_write_b32 acc85, v6                      // 
v_accvgpr_write_b32 acc149, v7                     // 
v_accvgpr_write_b32 acc213, v8                     // 
v_accvgpr_read_b32 v5, acc101                      // glvw 7 mb 0 tt1 22 r 0
v_accvgpr_read_b32 v6, acc165                      // glvw 7 mb 0 tt1 22 r 0
v_accvgpr_read_b32 v7, acc229                      // glvw 7 mb 0 tt1 22 r 0
v_accvgpr_read_b32 v8, acc37                       // glvw 7 mb 0 tt1 22 r 0
s_nop 1                                            // v_accvgpr read vgpr after write vgpr: 2 wait states
ds_bpermute_b32 v5, v0, v5, offset:8               // permute edge values
ds_bpermute_b32 v6, v0, v6, offset:8               // permute edge values
	;; [unrolled: 1-line block ×3, first 2 shown]
ds_bpermute_b32 v8, v0, v8, offset:12              // permute edge values
s_waitcnt 0                                        // wait for swizzle operation
v_accvgpr_write_b32 acc37, v5                      // 
v_accvgpr_write_b32 acc101, v6                     // 
v_accvgpr_write_b32 acc165, v7                     // 
v_accvgpr_write_b32 acc229, v8                     // 
v_accvgpr_read_b32 v5, acc117                      // glvw 7 mb 0 tt1 23 r 0
v_accvgpr_read_b32 v6, acc181                      // glvw 7 mb 0 tt1 23 r 0
v_accvgpr_read_b32 v7, acc245                      // glvw 7 mb 0 tt1 23 r 0
v_accvgpr_read_b32 v8, acc53                       // glvw 7 mb 0 tt1 23 r 0
s_nop 1                                            // v_accvgpr read vgpr after write vgpr: 2 wait states
ds_bpermute_b32 v5, v0, v5, offset:8               // permute edge values
ds_bpermute_b32 v6, v0, v6, offset:8               // permute edge values
	;; [unrolled: 1-line block ×3, first 2 shown]
ds_bpermute_b32 v8, v0, v8, offset:12              // permute edge values
s_waitcnt 0                                        // wait for swizzle operation
v_accvgpr_write_b32 acc53, v5                      // 
v_accvgpr_write_b32 acc117, v6                     // 
v_accvgpr_write_b32 acc181, v7                     // 
v_accvgpr_write_b32 acc245, v8                     // 
v_accvgpr_read_b32 v5, acc70                       // glvw 7 mb 0 tt1 24 r 0
v_accvgpr_read_b32 v6, acc134                      // glvw 7 mb 0 tt1 24 r 0
v_accvgpr_read_b32 v7, acc198                      // glvw 7 mb 0 tt1 24 r 0
v_accvgpr_read_b32 v8, acc6                        // glvw 7 mb 0 tt1 24 r 0
s_nop 1                                            // v_accvgpr read vgpr after write vgpr: 2 wait states
ds_bpermute_b32 v5, v0, v5, offset:8               // permute edge values
ds_bpermute_b32 v6, v0, v6, offset:8               // permute edge values
	;; [unrolled: 1-line block ×3, first 2 shown]
ds_bpermute_b32 v8, v0, v8, offset:12              // permute edge values
s_waitcnt 0                                        // wait for swizzle operation
v_accvgpr_write_b32 acc6, v5                       // 
v_accvgpr_write_b32 acc70, v6                      // 
v_accvgpr_write_b32 acc134, v7                     // 
v_accvgpr_write_b32 acc198, v8                     // 
v_accvgpr_read_b32 v5, acc86                       // glvw 7 mb 0 tt1 25 r 0
v_accvgpr_read_b32 v6, acc150                      // glvw 7 mb 0 tt1 25 r 0
v_accvgpr_read_b32 v7, acc214                      // glvw 7 mb 0 tt1 25 r 0
v_accvgpr_read_b32 v8, acc22                       // glvw 7 mb 0 tt1 25 r 0
s_nop 1                                            // v_accvgpr read vgpr after write vgpr: 2 wait states
ds_bpermute_b32 v5, v0, v5, offset:8               // permute edge values
ds_bpermute_b32 v6, v0, v6, offset:8               // permute edge values
	;; [unrolled: 1-line block ×3, first 2 shown]
ds_bpermute_b32 v8, v0, v8, offset:12              // permute edge values
s_waitcnt 0                                        // wait for swizzle operation
v_accvgpr_write_b32 acc22, v5                      // 
v_accvgpr_write_b32 acc86, v6                      // 
v_accvgpr_write_b32 acc150, v7                     // 
v_accvgpr_write_b32 acc214, v8                     // 
v_accvgpr_read_b32 v5, acc102                      // glvw 7 mb 0 tt1 26 r 0
v_accvgpr_read_b32 v6, acc166                      // glvw 7 mb 0 tt1 26 r 0
v_accvgpr_read_b32 v7, acc230                      // glvw 7 mb 0 tt1 26 r 0
v_accvgpr_read_b32 v8, acc38                       // glvw 7 mb 0 tt1 26 r 0
s_nop 1                                            // v_accvgpr read vgpr after write vgpr: 2 wait states
ds_bpermute_b32 v5, v0, v5, offset:8               // permute edge values
ds_bpermute_b32 v6, v0, v6, offset:8               // permute edge values
	;; [unrolled: 1-line block ×3, first 2 shown]
ds_bpermute_b32 v8, v0, v8, offset:12              // permute edge values
s_waitcnt 0                                        // wait for swizzle operation
v_accvgpr_write_b32 acc38, v5                      // 
v_accvgpr_write_b32 acc102, v6                     // 
v_accvgpr_write_b32 acc166, v7                     // 
v_accvgpr_write_b32 acc230, v8                     // 
v_accvgpr_read_b32 v5, acc118                      // glvw 7 mb 0 tt1 27 r 0
v_accvgpr_read_b32 v6, acc182                      // glvw 7 mb 0 tt1 27 r 0
v_accvgpr_read_b32 v7, acc246                      // glvw 7 mb 0 tt1 27 r 0
v_accvgpr_read_b32 v8, acc54                       // glvw 7 mb 0 tt1 27 r 0
s_nop 1                                            // v_accvgpr read vgpr after write vgpr: 2 wait states
ds_bpermute_b32 v5, v0, v5, offset:8               // permute edge values
ds_bpermute_b32 v6, v0, v6, offset:8               // permute edge values
	;; [unrolled: 1-line block ×3, first 2 shown]
ds_bpermute_b32 v8, v0, v8, offset:12              // permute edge values
s_waitcnt 0                                        // wait for swizzle operation
v_accvgpr_write_b32 acc54, v5                      // 
v_accvgpr_write_b32 acc118, v6                     // 
v_accvgpr_write_b32 acc182, v7                     // 
v_accvgpr_write_b32 acc246, v8                     // 
v_accvgpr_read_b32 v5, acc71                       // glvw 7 mb 0 tt1 28 r 0
v_accvgpr_read_b32 v6, acc135                      // glvw 7 mb 0 tt1 28 r 0
v_accvgpr_read_b32 v7, acc199                      // glvw 7 mb 0 tt1 28 r 0
v_accvgpr_read_b32 v8, acc7                        // glvw 7 mb 0 tt1 28 r 0
s_nop 1                                            // v_accvgpr read vgpr after write vgpr: 2 wait states
ds_bpermute_b32 v5, v0, v5, offset:8               // permute edge values
ds_bpermute_b32 v6, v0, v6, offset:8               // permute edge values
	;; [unrolled: 1-line block ×3, first 2 shown]
ds_bpermute_b32 v8, v0, v8, offset:12              // permute edge values
s_waitcnt 0                                        // wait for swizzle operation
v_accvgpr_write_b32 acc7, v5                       // 
v_accvgpr_write_b32 acc71, v6                      // 
v_accvgpr_write_b32 acc135, v7                     // 
v_accvgpr_write_b32 acc199, v8                     // 
v_accvgpr_read_b32 v5, acc87                       // glvw 7 mb 0 tt1 29 r 0
v_accvgpr_read_b32 v6, acc151                      // glvw 7 mb 0 tt1 29 r 0
v_accvgpr_read_b32 v7, acc215                      // glvw 7 mb 0 tt1 29 r 0
v_accvgpr_read_b32 v8, acc23                       // glvw 7 mb 0 tt1 29 r 0
s_nop 1                                            // v_accvgpr read vgpr after write vgpr: 2 wait states
ds_bpermute_b32 v5, v0, v5, offset:8               // permute edge values
ds_bpermute_b32 v6, v0, v6, offset:8               // permute edge values
	;; [unrolled: 1-line block ×3, first 2 shown]
ds_bpermute_b32 v8, v0, v8, offset:12              // permute edge values
s_waitcnt 0                                        // wait for swizzle operation
v_accvgpr_write_b32 acc23, v5                      // 
v_accvgpr_write_b32 acc87, v6                      // 
v_accvgpr_write_b32 acc151, v7                     // 
v_accvgpr_write_b32 acc215, v8                     // 
v_accvgpr_read_b32 v5, acc103                      // glvw 7 mb 0 tt1 30 r 0
v_accvgpr_read_b32 v6, acc167                      // glvw 7 mb 0 tt1 30 r 0
v_accvgpr_read_b32 v7, acc231                      // glvw 7 mb 0 tt1 30 r 0
v_accvgpr_read_b32 v8, acc39                       // glvw 7 mb 0 tt1 30 r 0
s_nop 1                                            // v_accvgpr read vgpr after write vgpr: 2 wait states
ds_bpermute_b32 v5, v0, v5, offset:8               // permute edge values
ds_bpermute_b32 v6, v0, v6, offset:8               // permute edge values
	;; [unrolled: 1-line block ×3, first 2 shown]
ds_bpermute_b32 v8, v0, v8, offset:12              // permute edge values
s_waitcnt 0                                        // wait for swizzle operation
v_accvgpr_write_b32 acc39, v5                      // 
v_accvgpr_write_b32 acc103, v6                     // 
v_accvgpr_write_b32 acc167, v7                     // 
v_accvgpr_write_b32 acc231, v8                     // 
v_accvgpr_read_b32 v5, acc119                      // glvw 7 mb 0 tt1 31 r 0
v_accvgpr_read_b32 v6, acc183                      // glvw 7 mb 0 tt1 31 r 0
v_accvgpr_read_b32 v7, acc247                      // glvw 7 mb 0 tt1 31 r 0
v_accvgpr_read_b32 v8, acc55                       // glvw 7 mb 0 tt1 31 r 0
s_nop 1                                            // v_accvgpr read vgpr after write vgpr: 2 wait states
ds_bpermute_b32 v5, v0, v5, offset:8               // permute edge values
ds_bpermute_b32 v6, v0, v6, offset:8               // permute edge values
	;; [unrolled: 1-line block ×3, first 2 shown]
ds_bpermute_b32 v8, v0, v8, offset:12              // permute edge values
s_waitcnt 0                                        // wait for swizzle operation
v_accvgpr_write_b32 acc55, v5                      // 
v_accvgpr_write_b32 acc119, v6                     // 
v_accvgpr_write_b32 acc183, v7                     // 
v_accvgpr_write_b32 acc247, v8                     // 
v_accvgpr_read_b32 v5, acc72                       // glvw 7 mb 0 tt1 32 r 0
v_accvgpr_read_b32 v6, acc136                      // glvw 7 mb 0 tt1 32 r 0
v_accvgpr_read_b32 v7, acc200                      // glvw 7 mb 0 tt1 32 r 0
v_accvgpr_read_b32 v8, acc8                        // glvw 7 mb 0 tt1 32 r 0
s_nop 1                                            // v_accvgpr read vgpr after write vgpr: 2 wait states
ds_bpermute_b32 v5, v0, v5, offset:8               // permute edge values
ds_bpermute_b32 v6, v0, v6, offset:8               // permute edge values
	;; [unrolled: 1-line block ×3, first 2 shown]
ds_bpermute_b32 v8, v0, v8, offset:12              // permute edge values
s_waitcnt 0                                        // wait for swizzle operation
v_accvgpr_write_b32 acc8, v5                       // 
v_accvgpr_write_b32 acc72, v6                      // 
v_accvgpr_write_b32 acc136, v7                     // 
v_accvgpr_write_b32 acc200, v8                     // 
v_accvgpr_read_b32 v5, acc88                       // glvw 7 mb 0 tt1 33 r 0
v_accvgpr_read_b32 v6, acc152                      // glvw 7 mb 0 tt1 33 r 0
v_accvgpr_read_b32 v7, acc216                      // glvw 7 mb 0 tt1 33 r 0
v_accvgpr_read_b32 v8, acc24                       // glvw 7 mb 0 tt1 33 r 0
s_nop 1                                            // v_accvgpr read vgpr after write vgpr: 2 wait states
ds_bpermute_b32 v5, v0, v5, offset:8               // permute edge values
ds_bpermute_b32 v6, v0, v6, offset:8               // permute edge values
ds_bpermute_b32 v7, v0, v7, offset:8               // permute edge values
ds_bpermute_b32 v8, v0, v8, offset:12              // permute edge values
s_waitcnt 0                                        // wait for swizzle operation
v_accvgpr_write_b32 acc24, v5                      // 
v_accvgpr_write_b32 acc88, v6                      // 
v_accvgpr_write_b32 acc152, v7                     // 
v_accvgpr_write_b32 acc216, v8                     // 
v_accvgpr_read_b32 v5, acc104                      // glvw 7 mb 0 tt1 34 r 0
v_accvgpr_read_b32 v6, acc168                      // glvw 7 mb 0 tt1 34 r 0
v_accvgpr_read_b32 v7, acc232                      // glvw 7 mb 0 tt1 34 r 0
v_accvgpr_read_b32 v8, acc40                       // glvw 7 mb 0 tt1 34 r 0
s_nop 1                                            // v_accvgpr read vgpr after write vgpr: 2 wait states
ds_bpermute_b32 v5, v0, v5, offset:8               // permute edge values
ds_bpermute_b32 v6, v0, v6, offset:8               // permute edge values
	;; [unrolled: 1-line block ×3, first 2 shown]
ds_bpermute_b32 v8, v0, v8, offset:12              // permute edge values
s_waitcnt 0                                        // wait for swizzle operation
v_accvgpr_write_b32 acc40, v5                      // 
v_accvgpr_write_b32 acc104, v6                     // 
v_accvgpr_write_b32 acc168, v7                     // 
v_accvgpr_write_b32 acc232, v8                     // 
v_accvgpr_read_b32 v5, acc120                      // glvw 7 mb 0 tt1 35 r 0
v_accvgpr_read_b32 v6, acc184                      // glvw 7 mb 0 tt1 35 r 0
v_accvgpr_read_b32 v7, acc248                      // glvw 7 mb 0 tt1 35 r 0
v_accvgpr_read_b32 v8, acc56                       // glvw 7 mb 0 tt1 35 r 0
s_nop 1                                            // v_accvgpr read vgpr after write vgpr: 2 wait states
ds_bpermute_b32 v5, v0, v5, offset:8               // permute edge values
ds_bpermute_b32 v6, v0, v6, offset:8               // permute edge values
	;; [unrolled: 1-line block ×3, first 2 shown]
ds_bpermute_b32 v8, v0, v8, offset:12              // permute edge values
s_waitcnt 0                                        // wait for swizzle operation
v_accvgpr_write_b32 acc56, v5                      // 
v_accvgpr_write_b32 acc120, v6                     // 
v_accvgpr_write_b32 acc184, v7                     // 
v_accvgpr_write_b32 acc248, v8                     // 
v_accvgpr_read_b32 v5, acc73                       // glvw 7 mb 0 tt1 36 r 0
v_accvgpr_read_b32 v6, acc137                      // glvw 7 mb 0 tt1 36 r 0
v_accvgpr_read_b32 v7, acc201                      // glvw 7 mb 0 tt1 36 r 0
v_accvgpr_read_b32 v8, acc9                        // glvw 7 mb 0 tt1 36 r 0
s_nop 1                                            // v_accvgpr read vgpr after write vgpr: 2 wait states
ds_bpermute_b32 v5, v0, v5, offset:8               // permute edge values
ds_bpermute_b32 v6, v0, v6, offset:8               // permute edge values
	;; [unrolled: 1-line block ×3, first 2 shown]
ds_bpermute_b32 v8, v0, v8, offset:12              // permute edge values
s_waitcnt 0                                        // wait for swizzle operation
v_accvgpr_write_b32 acc9, v5                       // 
v_accvgpr_write_b32 acc73, v6                      // 
v_accvgpr_write_b32 acc137, v7                     // 
v_accvgpr_write_b32 acc201, v8                     // 
v_accvgpr_read_b32 v5, acc89                       // glvw 7 mb 0 tt1 37 r 0
v_accvgpr_read_b32 v6, acc153                      // glvw 7 mb 0 tt1 37 r 0
v_accvgpr_read_b32 v7, acc217                      // glvw 7 mb 0 tt1 37 r 0
v_accvgpr_read_b32 v8, acc25                       // glvw 7 mb 0 tt1 37 r 0
s_nop 1                                            // v_accvgpr read vgpr after write vgpr: 2 wait states
ds_bpermute_b32 v5, v0, v5, offset:8               // permute edge values
ds_bpermute_b32 v6, v0, v6, offset:8               // permute edge values
	;; [unrolled: 1-line block ×3, first 2 shown]
ds_bpermute_b32 v8, v0, v8, offset:12              // permute edge values
s_waitcnt 0                                        // wait for swizzle operation
v_accvgpr_write_b32 acc25, v5                      // 
v_accvgpr_write_b32 acc89, v6                      // 
v_accvgpr_write_b32 acc153, v7                     // 
v_accvgpr_write_b32 acc217, v8                     // 
v_accvgpr_read_b32 v5, acc105                      // glvw 7 mb 0 tt1 38 r 0
v_accvgpr_read_b32 v6, acc169                      // glvw 7 mb 0 tt1 38 r 0
v_accvgpr_read_b32 v7, acc233                      // glvw 7 mb 0 tt1 38 r 0
v_accvgpr_read_b32 v8, acc41                       // glvw 7 mb 0 tt1 38 r 0
s_nop 1                                            // v_accvgpr read vgpr after write vgpr: 2 wait states
ds_bpermute_b32 v5, v0, v5, offset:8               // permute edge values
ds_bpermute_b32 v6, v0, v6, offset:8               // permute edge values
	;; [unrolled: 1-line block ×3, first 2 shown]
ds_bpermute_b32 v8, v0, v8, offset:12              // permute edge values
s_waitcnt 0                                        // wait for swizzle operation
v_accvgpr_write_b32 acc41, v5                      // 
v_accvgpr_write_b32 acc105, v6                     // 
v_accvgpr_write_b32 acc169, v7                     // 
v_accvgpr_write_b32 acc233, v8                     // 
v_accvgpr_read_b32 v5, acc121                      // glvw 7 mb 0 tt1 39 r 0
v_accvgpr_read_b32 v6, acc185                      // glvw 7 mb 0 tt1 39 r 0
v_accvgpr_read_b32 v7, acc249                      // glvw 7 mb 0 tt1 39 r 0
v_accvgpr_read_b32 v8, acc57                       // glvw 7 mb 0 tt1 39 r 0
s_nop 1                                            // v_accvgpr read vgpr after write vgpr: 2 wait states
ds_bpermute_b32 v5, v0, v5, offset:8               // permute edge values
ds_bpermute_b32 v6, v0, v6, offset:8               // permute edge values
	;; [unrolled: 1-line block ×3, first 2 shown]
ds_bpermute_b32 v8, v0, v8, offset:12              // permute edge values
s_waitcnt 0                                        // wait for swizzle operation
v_accvgpr_write_b32 acc57, v5                      // 
v_accvgpr_write_b32 acc121, v6                     // 
v_accvgpr_write_b32 acc185, v7                     // 
v_accvgpr_write_b32 acc249, v8                     // 
v_accvgpr_read_b32 v5, acc74                       // glvw 7 mb 0 tt1 40 r 0
v_accvgpr_read_b32 v6, acc138                      // glvw 7 mb 0 tt1 40 r 0
v_accvgpr_read_b32 v7, acc202                      // glvw 7 mb 0 tt1 40 r 0
v_accvgpr_read_b32 v8, acc10                       // glvw 7 mb 0 tt1 40 r 0
s_nop 1                                            // v_accvgpr read vgpr after write vgpr: 2 wait states
ds_bpermute_b32 v5, v0, v5, offset:8               // permute edge values
ds_bpermute_b32 v6, v0, v6, offset:8               // permute edge values
	;; [unrolled: 1-line block ×3, first 2 shown]
ds_bpermute_b32 v8, v0, v8, offset:12              // permute edge values
s_waitcnt 0                                        // wait for swizzle operation
v_accvgpr_write_b32 acc10, v5                      // 
v_accvgpr_write_b32 acc74, v6                      // 
v_accvgpr_write_b32 acc138, v7                     // 
v_accvgpr_write_b32 acc202, v8                     // 
v_accvgpr_read_b32 v5, acc90                       // glvw 7 mb 0 tt1 41 r 0
v_accvgpr_read_b32 v6, acc154                      // glvw 7 mb 0 tt1 41 r 0
v_accvgpr_read_b32 v7, acc218                      // glvw 7 mb 0 tt1 41 r 0
v_accvgpr_read_b32 v8, acc26                       // glvw 7 mb 0 tt1 41 r 0
s_nop 1                                            // v_accvgpr read vgpr after write vgpr: 2 wait states
ds_bpermute_b32 v5, v0, v5, offset:8               // permute edge values
ds_bpermute_b32 v6, v0, v6, offset:8               // permute edge values
	;; [unrolled: 1-line block ×3, first 2 shown]
ds_bpermute_b32 v8, v0, v8, offset:12              // permute edge values
s_waitcnt 0                                        // wait for swizzle operation
v_accvgpr_write_b32 acc26, v5                      // 
v_accvgpr_write_b32 acc90, v6                      // 
v_accvgpr_write_b32 acc154, v7                     // 
v_accvgpr_write_b32 acc218, v8                     // 
v_accvgpr_read_b32 v5, acc106                      // glvw 7 mb 0 tt1 42 r 0
v_accvgpr_read_b32 v6, acc170                      // glvw 7 mb 0 tt1 42 r 0
v_accvgpr_read_b32 v7, acc234                      // glvw 7 mb 0 tt1 42 r 0
v_accvgpr_read_b32 v8, acc42                       // glvw 7 mb 0 tt1 42 r 0
s_nop 1                                            // v_accvgpr read vgpr after write vgpr: 2 wait states
ds_bpermute_b32 v5, v0, v5, offset:8               // permute edge values
ds_bpermute_b32 v6, v0, v6, offset:8               // permute edge values
	;; [unrolled: 1-line block ×3, first 2 shown]
ds_bpermute_b32 v8, v0, v8, offset:12              // permute edge values
s_waitcnt 0                                        // wait for swizzle operation
v_accvgpr_write_b32 acc42, v5                      // 
v_accvgpr_write_b32 acc106, v6                     // 
v_accvgpr_write_b32 acc170, v7                     // 
v_accvgpr_write_b32 acc234, v8                     // 
v_accvgpr_read_b32 v5, acc122                      // glvw 7 mb 0 tt1 43 r 0
v_accvgpr_read_b32 v6, acc186                      // glvw 7 mb 0 tt1 43 r 0
v_accvgpr_read_b32 v7, acc250                      // glvw 7 mb 0 tt1 43 r 0
v_accvgpr_read_b32 v8, acc58                       // glvw 7 mb 0 tt1 43 r 0
s_nop 1                                            // v_accvgpr read vgpr after write vgpr: 2 wait states
ds_bpermute_b32 v5, v0, v5, offset:8               // permute edge values
ds_bpermute_b32 v6, v0, v6, offset:8               // permute edge values
	;; [unrolled: 1-line block ×3, first 2 shown]
ds_bpermute_b32 v8, v0, v8, offset:12              // permute edge values
s_waitcnt 0                                        // wait for swizzle operation
v_accvgpr_write_b32 acc58, v5                      // 
v_accvgpr_write_b32 acc122, v6                     // 
v_accvgpr_write_b32 acc186, v7                     // 
v_accvgpr_write_b32 acc250, v8                     // 
v_accvgpr_read_b32 v5, acc75                       // glvw 7 mb 0 tt1 44 r 0
v_accvgpr_read_b32 v6, acc139                      // glvw 7 mb 0 tt1 44 r 0
v_accvgpr_read_b32 v7, acc203                      // glvw 7 mb 0 tt1 44 r 0
v_accvgpr_read_b32 v8, acc11                       // glvw 7 mb 0 tt1 44 r 0
s_nop 1                                            // v_accvgpr read vgpr after write vgpr: 2 wait states
ds_bpermute_b32 v5, v0, v5, offset:8               // permute edge values
ds_bpermute_b32 v6, v0, v6, offset:8               // permute edge values
	;; [unrolled: 1-line block ×3, first 2 shown]
ds_bpermute_b32 v8, v0, v8, offset:12              // permute edge values
s_waitcnt 0                                        // wait for swizzle operation
v_accvgpr_write_b32 acc11, v5                      // 
v_accvgpr_write_b32 acc75, v6                      // 
v_accvgpr_write_b32 acc139, v7                     // 
v_accvgpr_write_b32 acc203, v8                     // 
v_accvgpr_read_b32 v5, acc91                       // glvw 7 mb 0 tt1 45 r 0
v_accvgpr_read_b32 v6, acc155                      // glvw 7 mb 0 tt1 45 r 0
v_accvgpr_read_b32 v7, acc219                      // glvw 7 mb 0 tt1 45 r 0
v_accvgpr_read_b32 v8, acc27                       // glvw 7 mb 0 tt1 45 r 0
s_nop 1                                            // v_accvgpr read vgpr after write vgpr: 2 wait states
ds_bpermute_b32 v5, v0, v5, offset:8               // permute edge values
ds_bpermute_b32 v6, v0, v6, offset:8               // permute edge values
	;; [unrolled: 1-line block ×3, first 2 shown]
ds_bpermute_b32 v8, v0, v8, offset:12              // permute edge values
s_waitcnt 0                                        // wait for swizzle operation
v_accvgpr_write_b32 acc27, v5                      // 
v_accvgpr_write_b32 acc91, v6                      // 
v_accvgpr_write_b32 acc155, v7                     // 
v_accvgpr_write_b32 acc219, v8                     // 
v_accvgpr_read_b32 v5, acc107                      // glvw 7 mb 0 tt1 46 r 0
v_accvgpr_read_b32 v6, acc171                      // glvw 7 mb 0 tt1 46 r 0
v_accvgpr_read_b32 v7, acc235                      // glvw 7 mb 0 tt1 46 r 0
v_accvgpr_read_b32 v8, acc43                       // glvw 7 mb 0 tt1 46 r 0
s_nop 1                                            // v_accvgpr read vgpr after write vgpr: 2 wait states
ds_bpermute_b32 v5, v0, v5, offset:8               // permute edge values
ds_bpermute_b32 v6, v0, v6, offset:8               // permute edge values
	;; [unrolled: 1-line block ×3, first 2 shown]
ds_bpermute_b32 v8, v0, v8, offset:12              // permute edge values
s_waitcnt 0                                        // wait for swizzle operation
v_accvgpr_write_b32 acc43, v5                      // 
v_accvgpr_write_b32 acc107, v6                     // 
v_accvgpr_write_b32 acc171, v7                     // 
v_accvgpr_write_b32 acc235, v8                     // 
v_accvgpr_read_b32 v5, acc123                      // glvw 7 mb 0 tt1 47 r 0
v_accvgpr_read_b32 v6, acc187                      // glvw 7 mb 0 tt1 47 r 0
v_accvgpr_read_b32 v7, acc251                      // glvw 7 mb 0 tt1 47 r 0
v_accvgpr_read_b32 v8, acc59                       // glvw 7 mb 0 tt1 47 r 0
s_nop 1                                            // v_accvgpr read vgpr after write vgpr: 2 wait states
ds_bpermute_b32 v5, v0, v5, offset:8               // permute edge values
ds_bpermute_b32 v6, v0, v6, offset:8               // permute edge values
ds_bpermute_b32 v7, v0, v7, offset:8               // permute edge values
ds_bpermute_b32 v8, v0, v8, offset:12              // permute edge values
s_waitcnt 0                                        // wait for swizzle operation
v_accvgpr_write_b32 acc59, v5                      // 
v_accvgpr_write_b32 acc123, v6                     // 
v_accvgpr_write_b32 acc187, v7                     // 
v_accvgpr_write_b32 acc251, v8                     // 
v_accvgpr_read_b32 v5, acc76                       // glvw 7 mb 0 tt1 48 r 0
v_accvgpr_read_b32 v6, acc140                      // glvw 7 mb 0 tt1 48 r 0
v_accvgpr_read_b32 v7, acc204                      // glvw 7 mb 0 tt1 48 r 0
v_accvgpr_read_b32 v8, acc12                       // glvw 7 mb 0 tt1 48 r 0
s_nop 1                                            // v_accvgpr read vgpr after write vgpr: 2 wait states
ds_bpermute_b32 v5, v0, v5, offset:8               // permute edge values
ds_bpermute_b32 v6, v0, v6, offset:8               // permute edge values
	;; [unrolled: 1-line block ×3, first 2 shown]
ds_bpermute_b32 v8, v0, v8, offset:12              // permute edge values
s_waitcnt 0                                        // wait for swizzle operation
v_accvgpr_write_b32 acc12, v5                      // 
v_accvgpr_write_b32 acc76, v6                      // 
v_accvgpr_write_b32 acc140, v7                     // 
v_accvgpr_write_b32 acc204, v8                     // 
v_accvgpr_read_b32 v5, acc92                       // glvw 7 mb 0 tt1 49 r 0
v_accvgpr_read_b32 v6, acc156                      // glvw 7 mb 0 tt1 49 r 0
v_accvgpr_read_b32 v7, acc220                      // glvw 7 mb 0 tt1 49 r 0
v_accvgpr_read_b32 v8, acc28                       // glvw 7 mb 0 tt1 49 r 0
s_nop 1                                            // v_accvgpr read vgpr after write vgpr: 2 wait states
ds_bpermute_b32 v5, v0, v5, offset:8               // permute edge values
ds_bpermute_b32 v6, v0, v6, offset:8               // permute edge values
	;; [unrolled: 1-line block ×3, first 2 shown]
ds_bpermute_b32 v8, v0, v8, offset:12              // permute edge values
s_waitcnt 0                                        // wait for swizzle operation
v_accvgpr_write_b32 acc28, v5                      // 
v_accvgpr_write_b32 acc92, v6                      // 
v_accvgpr_write_b32 acc156, v7                     // 
v_accvgpr_write_b32 acc220, v8                     // 
v_accvgpr_read_b32 v5, acc108                      // glvw 7 mb 0 tt1 50 r 0
v_accvgpr_read_b32 v6, acc172                      // glvw 7 mb 0 tt1 50 r 0
v_accvgpr_read_b32 v7, acc236                      // glvw 7 mb 0 tt1 50 r 0
v_accvgpr_read_b32 v8, acc44                       // glvw 7 mb 0 tt1 50 r 0
s_nop 1                                            // v_accvgpr read vgpr after write vgpr: 2 wait states
ds_bpermute_b32 v5, v0, v5, offset:8               // permute edge values
ds_bpermute_b32 v6, v0, v6, offset:8               // permute edge values
	;; [unrolled: 1-line block ×3, first 2 shown]
ds_bpermute_b32 v8, v0, v8, offset:12              // permute edge values
s_waitcnt 0                                        // wait for swizzle operation
v_accvgpr_write_b32 acc44, v5                      // 
v_accvgpr_write_b32 acc108, v6                     // 
v_accvgpr_write_b32 acc172, v7                     // 
v_accvgpr_write_b32 acc236, v8                     // 
v_accvgpr_read_b32 v5, acc124                      // glvw 7 mb 0 tt1 51 r 0
v_accvgpr_read_b32 v6, acc188                      // glvw 7 mb 0 tt1 51 r 0
v_accvgpr_read_b32 v7, acc252                      // glvw 7 mb 0 tt1 51 r 0
v_accvgpr_read_b32 v8, acc60                       // glvw 7 mb 0 tt1 51 r 0
s_nop 1                                            // v_accvgpr read vgpr after write vgpr: 2 wait states
ds_bpermute_b32 v5, v0, v5, offset:8               // permute edge values
ds_bpermute_b32 v6, v0, v6, offset:8               // permute edge values
	;; [unrolled: 1-line block ×3, first 2 shown]
ds_bpermute_b32 v8, v0, v8, offset:12              // permute edge values
s_waitcnt 0                                        // wait for swizzle operation
v_accvgpr_write_b32 acc60, v5                      // 
v_accvgpr_write_b32 acc124, v6                     // 
v_accvgpr_write_b32 acc188, v7                     // 
v_accvgpr_write_b32 acc252, v8                     // 
v_accvgpr_read_b32 v5, acc77                       // glvw 7 mb 0 tt1 52 r 0
v_accvgpr_read_b32 v6, acc141                      // glvw 7 mb 0 tt1 52 r 0
v_accvgpr_read_b32 v7, acc205                      // glvw 7 mb 0 tt1 52 r 0
v_accvgpr_read_b32 v8, acc13                       // glvw 7 mb 0 tt1 52 r 0
s_nop 1                                            // v_accvgpr read vgpr after write vgpr: 2 wait states
ds_bpermute_b32 v5, v0, v5, offset:8               // permute edge values
ds_bpermute_b32 v6, v0, v6, offset:8               // permute edge values
	;; [unrolled: 1-line block ×3, first 2 shown]
ds_bpermute_b32 v8, v0, v8, offset:12              // permute edge values
s_waitcnt 0                                        // wait for swizzle operation
v_accvgpr_write_b32 acc13, v5                      // 
v_accvgpr_write_b32 acc77, v6                      // 
v_accvgpr_write_b32 acc141, v7                     // 
v_accvgpr_write_b32 acc205, v8                     // 
v_accvgpr_read_b32 v5, acc93                       // glvw 7 mb 0 tt1 53 r 0
v_accvgpr_read_b32 v6, acc157                      // glvw 7 mb 0 tt1 53 r 0
v_accvgpr_read_b32 v7, acc221                      // glvw 7 mb 0 tt1 53 r 0
v_accvgpr_read_b32 v8, acc29                       // glvw 7 mb 0 tt1 53 r 0
s_nop 1                                            // v_accvgpr read vgpr after write vgpr: 2 wait states
ds_bpermute_b32 v5, v0, v5, offset:8               // permute edge values
ds_bpermute_b32 v6, v0, v6, offset:8               // permute edge values
	;; [unrolled: 1-line block ×3, first 2 shown]
ds_bpermute_b32 v8, v0, v8, offset:12              // permute edge values
s_waitcnt 0                                        // wait for swizzle operation
v_accvgpr_write_b32 acc29, v5                      // 
v_accvgpr_write_b32 acc93, v6                      // 
v_accvgpr_write_b32 acc157, v7                     // 
v_accvgpr_write_b32 acc221, v8                     // 
v_accvgpr_read_b32 v5, acc109                      // glvw 7 mb 0 tt1 54 r 0
v_accvgpr_read_b32 v6, acc173                      // glvw 7 mb 0 tt1 54 r 0
v_accvgpr_read_b32 v7, acc237                      // glvw 7 mb 0 tt1 54 r 0
v_accvgpr_read_b32 v8, acc45                       // glvw 7 mb 0 tt1 54 r 0
s_nop 1                                            // v_accvgpr read vgpr after write vgpr: 2 wait states
ds_bpermute_b32 v5, v0, v5, offset:8               // permute edge values
ds_bpermute_b32 v6, v0, v6, offset:8               // permute edge values
	;; [unrolled: 1-line block ×3, first 2 shown]
ds_bpermute_b32 v8, v0, v8, offset:12              // permute edge values
s_waitcnt 0                                        // wait for swizzle operation
v_accvgpr_write_b32 acc45, v5                      // 
v_accvgpr_write_b32 acc109, v6                     // 
v_accvgpr_write_b32 acc173, v7                     // 
v_accvgpr_write_b32 acc237, v8                     // 
v_accvgpr_read_b32 v5, acc125                      // glvw 7 mb 0 tt1 55 r 0
v_accvgpr_read_b32 v6, acc189                      // glvw 7 mb 0 tt1 55 r 0
v_accvgpr_read_b32 v7, acc253                      // glvw 7 mb 0 tt1 55 r 0
v_accvgpr_read_b32 v8, acc61                       // glvw 7 mb 0 tt1 55 r 0
s_nop 1                                            // v_accvgpr read vgpr after write vgpr: 2 wait states
ds_bpermute_b32 v5, v0, v5, offset:8               // permute edge values
ds_bpermute_b32 v6, v0, v6, offset:8               // permute edge values
	;; [unrolled: 1-line block ×3, first 2 shown]
ds_bpermute_b32 v8, v0, v8, offset:12              // permute edge values
s_waitcnt 0                                        // wait for swizzle operation
v_accvgpr_write_b32 acc61, v5                      // 
v_accvgpr_write_b32 acc125, v6                     // 
v_accvgpr_write_b32 acc189, v7                     // 
v_accvgpr_write_b32 acc253, v8                     // 
v_accvgpr_read_b32 v5, acc78                       // glvw 7 mb 0 tt1 56 r 0
v_accvgpr_read_b32 v6, acc142                      // glvw 7 mb 0 tt1 56 r 0
v_accvgpr_read_b32 v7, acc206                      // glvw 7 mb 0 tt1 56 r 0
v_accvgpr_read_b32 v8, acc14                       // glvw 7 mb 0 tt1 56 r 0
s_nop 1                                            // v_accvgpr read vgpr after write vgpr: 2 wait states
ds_bpermute_b32 v5, v0, v5, offset:8               // permute edge values
ds_bpermute_b32 v6, v0, v6, offset:8               // permute edge values
	;; [unrolled: 1-line block ×3, first 2 shown]
ds_bpermute_b32 v8, v0, v8, offset:12              // permute edge values
s_waitcnt 0                                        // wait for swizzle operation
v_accvgpr_write_b32 acc14, v5                      // 
v_accvgpr_write_b32 acc78, v6                      // 
v_accvgpr_write_b32 acc142, v7                     // 
v_accvgpr_write_b32 acc206, v8                     // 
v_accvgpr_read_b32 v5, acc94                       // glvw 7 mb 0 tt1 57 r 0
v_accvgpr_read_b32 v6, acc158                      // glvw 7 mb 0 tt1 57 r 0
v_accvgpr_read_b32 v7, acc222                      // glvw 7 mb 0 tt1 57 r 0
v_accvgpr_read_b32 v8, acc30                       // glvw 7 mb 0 tt1 57 r 0
s_nop 1                                            // v_accvgpr read vgpr after write vgpr: 2 wait states
ds_bpermute_b32 v5, v0, v5, offset:8               // permute edge values
ds_bpermute_b32 v6, v0, v6, offset:8               // permute edge values
	;; [unrolled: 1-line block ×3, first 2 shown]
ds_bpermute_b32 v8, v0, v8, offset:12              // permute edge values
s_waitcnt 0                                        // wait for swizzle operation
v_accvgpr_write_b32 acc30, v5                      // 
v_accvgpr_write_b32 acc94, v6                      // 
v_accvgpr_write_b32 acc158, v7                     // 
v_accvgpr_write_b32 acc222, v8                     // 
v_accvgpr_read_b32 v5, acc110                      // glvw 7 mb 0 tt1 58 r 0
v_accvgpr_read_b32 v6, acc174                      // glvw 7 mb 0 tt1 58 r 0
v_accvgpr_read_b32 v7, acc238                      // glvw 7 mb 0 tt1 58 r 0
v_accvgpr_read_b32 v8, acc46                       // glvw 7 mb 0 tt1 58 r 0
s_nop 1                                            // v_accvgpr read vgpr after write vgpr: 2 wait states
ds_bpermute_b32 v5, v0, v5, offset:8               // permute edge values
ds_bpermute_b32 v6, v0, v6, offset:8               // permute edge values
	;; [unrolled: 1-line block ×3, first 2 shown]
ds_bpermute_b32 v8, v0, v8, offset:12              // permute edge values
s_waitcnt 0                                        // wait for swizzle operation
v_accvgpr_write_b32 acc46, v5                      // 
v_accvgpr_write_b32 acc110, v6                     // 
v_accvgpr_write_b32 acc174, v7                     // 
v_accvgpr_write_b32 acc238, v8                     // 
v_accvgpr_read_b32 v5, acc126                      // glvw 7 mb 0 tt1 59 r 0
v_accvgpr_read_b32 v6, acc190                      // glvw 7 mb 0 tt1 59 r 0
v_accvgpr_read_b32 v7, acc254                      // glvw 7 mb 0 tt1 59 r 0
v_accvgpr_read_b32 v8, acc62                       // glvw 7 mb 0 tt1 59 r 0
s_nop 1                                            // v_accvgpr read vgpr after write vgpr: 2 wait states
ds_bpermute_b32 v5, v0, v5, offset:8               // permute edge values
ds_bpermute_b32 v6, v0, v6, offset:8               // permute edge values
	;; [unrolled: 1-line block ×3, first 2 shown]
ds_bpermute_b32 v8, v0, v8, offset:12              // permute edge values
s_waitcnt 0                                        // wait for swizzle operation
v_accvgpr_write_b32 acc62, v5                      // 
v_accvgpr_write_b32 acc126, v6                     // 
v_accvgpr_write_b32 acc190, v7                     // 
v_accvgpr_write_b32 acc254, v8                     // 
v_accvgpr_read_b32 v5, acc79                       // glvw 7 mb 0 tt1 60 r 0
v_accvgpr_read_b32 v6, acc143                      // glvw 7 mb 0 tt1 60 r 0
v_accvgpr_read_b32 v7, acc207                      // glvw 7 mb 0 tt1 60 r 0
v_accvgpr_read_b32 v8, acc15                       // glvw 7 mb 0 tt1 60 r 0
s_nop 1                                            // v_accvgpr read vgpr after write vgpr: 2 wait states
ds_bpermute_b32 v5, v0, v5, offset:8               // permute edge values
ds_bpermute_b32 v6, v0, v6, offset:8               // permute edge values
	;; [unrolled: 1-line block ×3, first 2 shown]
ds_bpermute_b32 v8, v0, v8, offset:12              // permute edge values
s_waitcnt 0                                        // wait for swizzle operation
v_accvgpr_write_b32 acc15, v5                      // 
v_accvgpr_write_b32 acc79, v6                      // 
v_accvgpr_write_b32 acc143, v7                     // 
v_accvgpr_write_b32 acc207, v8                     // 
v_accvgpr_read_b32 v5, acc95                       // glvw 7 mb 0 tt1 61 r 0
v_accvgpr_read_b32 v6, acc159                      // glvw 7 mb 0 tt1 61 r 0
v_accvgpr_read_b32 v7, acc223                      // glvw 7 mb 0 tt1 61 r 0
v_accvgpr_read_b32 v8, acc31                       // glvw 7 mb 0 tt1 61 r 0
s_nop 1                                            // v_accvgpr read vgpr after write vgpr: 2 wait states
ds_bpermute_b32 v5, v0, v5, offset:8               // permute edge values
ds_bpermute_b32 v6, v0, v6, offset:8               // permute edge values
	;; [unrolled: 1-line block ×3, first 2 shown]
ds_bpermute_b32 v8, v0, v8, offset:12              // permute edge values
s_waitcnt 0                                        // wait for swizzle operation
v_accvgpr_write_b32 acc31, v5                      // 
v_accvgpr_write_b32 acc95, v6                      // 
v_accvgpr_write_b32 acc159, v7                     // 
v_accvgpr_write_b32 acc223, v8                     // 
v_accvgpr_read_b32 v5, acc111                      // glvw 7 mb 0 tt1 62 r 0
v_accvgpr_read_b32 v6, acc175                      // glvw 7 mb 0 tt1 62 r 0
v_accvgpr_read_b32 v7, acc239                      // glvw 7 mb 0 tt1 62 r 0
v_accvgpr_read_b32 v8, acc47                       // glvw 7 mb 0 tt1 62 r 0
s_nop 1                                            // v_accvgpr read vgpr after write vgpr: 2 wait states
ds_bpermute_b32 v5, v0, v5, offset:8               // permute edge values
ds_bpermute_b32 v6, v0, v6, offset:8               // permute edge values
	;; [unrolled: 1-line block ×3, first 2 shown]
ds_bpermute_b32 v8, v0, v8, offset:12              // permute edge values
s_waitcnt 0                                        // wait for swizzle operation
v_accvgpr_write_b32 acc47, v5                      // 
v_accvgpr_write_b32 acc111, v6                     // 
v_accvgpr_write_b32 acc175, v7                     // 
v_accvgpr_write_b32 acc239, v8                     // 
v_accvgpr_read_b32 v5, acc127                      // glvw 7 mb 0 tt1 63 r 0
v_accvgpr_read_b32 v6, acc191                      // glvw 7 mb 0 tt1 63 r 0
v_accvgpr_read_b32 v7, acc255                      // glvw 7 mb 0 tt1 63 r 0
v_accvgpr_read_b32 v8, acc63                       // glvw 7 mb 0 tt1 63 r 0
s_nop 1                                            // v_accvgpr read vgpr after write vgpr: 2 wait states
ds_bpermute_b32 v5, v0, v5, offset:8               // permute edge values
ds_bpermute_b32 v6, v0, v6, offset:8               // permute edge values
	;; [unrolled: 1-line block ×3, first 2 shown]
ds_bpermute_b32 v8, v0, v8, offset:12              // permute edge values
s_waitcnt 0                                        // wait for swizzle operation
v_accvgpr_write_b32 acc63, v5                      // 
v_accvgpr_write_b32 acc127, v6                     // 
v_accvgpr_write_b32 acc191, v7                     // 
v_accvgpr_write_b32 acc255, v8                     // 
s_mov_b64 s[42:43], 0xFFFFFFFFFFFFFFFF             // to restore all threads active
s_or_saveexec_b64 vcc, s[42:43]                    // all threads active
s_branch label_0222                                // done shifting


/******************************************/
/* shift d1 r=8 mb=0 vw0                  */
/******************************************/
label_0200: // r8 mb0 vw0 
s_mov_b32 s42, 0                                   // 
_v_cmpx_eq_u32 s[42:43], v4, s42                   // is thread in edge glvw region
v_and_b32 v0, 63, v[vgprSerial]                    // permute register between threads
v_lshlrev_b32 v0, 2, v0                            // permute register between threads
v_accvgpr_read_b32 v5, acc0                        // glvw 8 mb 0 tt1 0 r 0
v_accvgpr_read_b32 v6, acc64                       // glvw 8 mb 0 tt1 0 r 0
v_accvgpr_read_b32 v7, acc128                      // glvw 8 mb 0 tt1 0 r 0
v_accvgpr_read_b32 v8, acc192                      // glvw 8 mb 0 tt1 0 r 0
s_nop 1                                            // v_accvgpr read vgpr after write vgpr: 2 wait states
ds_bpermute_b32 v5, v0, v5, offset:8               // permute edge values
ds_bpermute_b32 v6, v0, v6, offset:8               // permute edge values
	;; [unrolled: 1-line block ×4, first 2 shown]
s_waitcnt 0                                        // wait for swizzle operation
v_accvgpr_write_b32 acc0, v5                       // 
v_accvgpr_write_b32 acc64, v6                      // 
v_accvgpr_write_b32 acc128, v7                     // 
v_accvgpr_write_b32 acc192, v8                     // 
v_accvgpr_read_b32 v5, acc16                       // glvw 8 mb 0 tt1 1 r 0
v_accvgpr_read_b32 v6, acc80                       // glvw 8 mb 0 tt1 1 r 0
v_accvgpr_read_b32 v7, acc144                      // glvw 8 mb 0 tt1 1 r 0
v_accvgpr_read_b32 v8, acc208                      // glvw 8 mb 0 tt1 1 r 0
s_nop 1                                            // v_accvgpr read vgpr after write vgpr: 2 wait states
ds_bpermute_b32 v5, v0, v5, offset:8               // permute edge values
ds_bpermute_b32 v6, v0, v6, offset:8               // permute edge values
	;; [unrolled: 1-line block ×4, first 2 shown]
s_waitcnt 0                                        // wait for swizzle operation
v_accvgpr_write_b32 acc16, v5                      // 
v_accvgpr_write_b32 acc80, v6                      // 
v_accvgpr_write_b32 acc144, v7                     // 
v_accvgpr_write_b32 acc208, v8                     // 
v_accvgpr_read_b32 v5, acc32                       // glvw 8 mb 0 tt1 2 r 0
v_accvgpr_read_b32 v6, acc96                       // glvw 8 mb 0 tt1 2 r 0
v_accvgpr_read_b32 v7, acc160                      // glvw 8 mb 0 tt1 2 r 0
v_accvgpr_read_b32 v8, acc224                      // glvw 8 mb 0 tt1 2 r 0
s_nop 1                                            // v_accvgpr read vgpr after write vgpr: 2 wait states
ds_bpermute_b32 v5, v0, v5, offset:8               // permute edge values
ds_bpermute_b32 v6, v0, v6, offset:8               // permute edge values
	;; [unrolled: 1-line block ×4, first 2 shown]
s_waitcnt 0                                        // wait for swizzle operation
v_accvgpr_write_b32 acc32, v5                      // 
v_accvgpr_write_b32 acc96, v6                      // 
v_accvgpr_write_b32 acc160, v7                     // 
v_accvgpr_write_b32 acc224, v8                     // 
v_accvgpr_read_b32 v5, acc48                       // glvw 8 mb 0 tt1 3 r 0
v_accvgpr_read_b32 v6, acc112                      // glvw 8 mb 0 tt1 3 r 0
v_accvgpr_read_b32 v7, acc176                      // glvw 8 mb 0 tt1 3 r 0
v_accvgpr_read_b32 v8, acc240                      // glvw 8 mb 0 tt1 3 r 0
s_nop 1                                            // v_accvgpr read vgpr after write vgpr: 2 wait states
ds_bpermute_b32 v5, v0, v5, offset:8               // permute edge values
ds_bpermute_b32 v6, v0, v6, offset:8               // permute edge values
	;; [unrolled: 1-line block ×4, first 2 shown]
s_waitcnt 0                                        // wait for swizzle operation
v_accvgpr_write_b32 acc48, v5                      // 
v_accvgpr_write_b32 acc112, v6                     // 
v_accvgpr_write_b32 acc176, v7                     // 
v_accvgpr_write_b32 acc240, v8                     // 
v_accvgpr_read_b32 v5, acc1                        // glvw 8 mb 0 tt1 4 r 0
v_accvgpr_read_b32 v6, acc65                       // glvw 8 mb 0 tt1 4 r 0
v_accvgpr_read_b32 v7, acc129                      // glvw 8 mb 0 tt1 4 r 0
v_accvgpr_read_b32 v8, acc193                      // glvw 8 mb 0 tt1 4 r 0
s_nop 1                                            // v_accvgpr read vgpr after write vgpr: 2 wait states
ds_bpermute_b32 v5, v0, v5, offset:8               // permute edge values
ds_bpermute_b32 v6, v0, v6, offset:8               // permute edge values
	;; [unrolled: 1-line block ×4, first 2 shown]
s_waitcnt 0                                        // wait for swizzle operation
v_accvgpr_write_b32 acc1, v5                       // 
v_accvgpr_write_b32 acc65, v6                      // 
v_accvgpr_write_b32 acc129, v7                     // 
v_accvgpr_write_b32 acc193, v8                     // 
v_accvgpr_read_b32 v5, acc17                       // glvw 8 mb 0 tt1 5 r 0
v_accvgpr_read_b32 v6, acc81                       // glvw 8 mb 0 tt1 5 r 0
v_accvgpr_read_b32 v7, acc145                      // glvw 8 mb 0 tt1 5 r 0
v_accvgpr_read_b32 v8, acc209                      // glvw 8 mb 0 tt1 5 r 0
s_nop 1                                            // v_accvgpr read vgpr after write vgpr: 2 wait states
ds_bpermute_b32 v5, v0, v5, offset:8               // permute edge values
ds_bpermute_b32 v6, v0, v6, offset:8               // permute edge values
	;; [unrolled: 1-line block ×4, first 2 shown]
s_waitcnt 0                                        // wait for swizzle operation
v_accvgpr_write_b32 acc17, v5                      // 
v_accvgpr_write_b32 acc81, v6                      // 
v_accvgpr_write_b32 acc145, v7                     // 
v_accvgpr_write_b32 acc209, v8                     // 
v_accvgpr_read_b32 v5, acc33                       // glvw 8 mb 0 tt1 6 r 0
v_accvgpr_read_b32 v6, acc97                       // glvw 8 mb 0 tt1 6 r 0
v_accvgpr_read_b32 v7, acc161                      // glvw 8 mb 0 tt1 6 r 0
v_accvgpr_read_b32 v8, acc225                      // glvw 8 mb 0 tt1 6 r 0
s_nop 1                                            // v_accvgpr read vgpr after write vgpr: 2 wait states
ds_bpermute_b32 v5, v0, v5, offset:8               // permute edge values
ds_bpermute_b32 v6, v0, v6, offset:8               // permute edge values
	;; [unrolled: 1-line block ×4, first 2 shown]
s_waitcnt 0                                        // wait for swizzle operation
v_accvgpr_write_b32 acc33, v5                      // 
v_accvgpr_write_b32 acc97, v6                      // 
v_accvgpr_write_b32 acc161, v7                     // 
v_accvgpr_write_b32 acc225, v8                     // 
v_accvgpr_read_b32 v5, acc49                       // glvw 8 mb 0 tt1 7 r 0
v_accvgpr_read_b32 v6, acc113                      // glvw 8 mb 0 tt1 7 r 0
v_accvgpr_read_b32 v7, acc177                      // glvw 8 mb 0 tt1 7 r 0
v_accvgpr_read_b32 v8, acc241                      // glvw 8 mb 0 tt1 7 r 0
s_nop 1                                            // v_accvgpr read vgpr after write vgpr: 2 wait states
ds_bpermute_b32 v5, v0, v5, offset:8               // permute edge values
ds_bpermute_b32 v6, v0, v6, offset:8               // permute edge values
	;; [unrolled: 1-line block ×4, first 2 shown]
s_waitcnt 0                                        // wait for swizzle operation
v_accvgpr_write_b32 acc49, v5                      // 
v_accvgpr_write_b32 acc113, v6                     // 
v_accvgpr_write_b32 acc177, v7                     // 
v_accvgpr_write_b32 acc241, v8                     // 
v_accvgpr_read_b32 v5, acc2                        // glvw 8 mb 0 tt1 8 r 0
v_accvgpr_read_b32 v6, acc66                       // glvw 8 mb 0 tt1 8 r 0
v_accvgpr_read_b32 v7, acc130                      // glvw 8 mb 0 tt1 8 r 0
v_accvgpr_read_b32 v8, acc194                      // glvw 8 mb 0 tt1 8 r 0
s_nop 1                                            // v_accvgpr read vgpr after write vgpr: 2 wait states
ds_bpermute_b32 v5, v0, v5, offset:8               // permute edge values
ds_bpermute_b32 v6, v0, v6, offset:8               // permute edge values
	;; [unrolled: 1-line block ×4, first 2 shown]
s_waitcnt 0                                        // wait for swizzle operation
v_accvgpr_write_b32 acc2, v5                       // 
v_accvgpr_write_b32 acc66, v6                      // 
v_accvgpr_write_b32 acc130, v7                     // 
v_accvgpr_write_b32 acc194, v8                     // 
v_accvgpr_read_b32 v5, acc18                       // glvw 8 mb 0 tt1 9 r 0
v_accvgpr_read_b32 v6, acc82                       // glvw 8 mb 0 tt1 9 r 0
v_accvgpr_read_b32 v7, acc146                      // glvw 8 mb 0 tt1 9 r 0
v_accvgpr_read_b32 v8, acc210                      // glvw 8 mb 0 tt1 9 r 0
s_nop 1                                            // v_accvgpr read vgpr after write vgpr: 2 wait states
ds_bpermute_b32 v5, v0, v5, offset:8               // permute edge values
ds_bpermute_b32 v6, v0, v6, offset:8               // permute edge values
	;; [unrolled: 1-line block ×4, first 2 shown]
s_waitcnt 0                                        // wait for swizzle operation
v_accvgpr_write_b32 acc18, v5                      // 
v_accvgpr_write_b32 acc82, v6                      // 
v_accvgpr_write_b32 acc146, v7                     // 
v_accvgpr_write_b32 acc210, v8                     // 
v_accvgpr_read_b32 v5, acc34                       // glvw 8 mb 0 tt1 10 r 0
v_accvgpr_read_b32 v6, acc98                       // glvw 8 mb 0 tt1 10 r 0
v_accvgpr_read_b32 v7, acc162                      // glvw 8 mb 0 tt1 10 r 0
v_accvgpr_read_b32 v8, acc226                      // glvw 8 mb 0 tt1 10 r 0
s_nop 1                                            // v_accvgpr read vgpr after write vgpr: 2 wait states
ds_bpermute_b32 v5, v0, v5, offset:8               // permute edge values
ds_bpermute_b32 v6, v0, v6, offset:8               // permute edge values
	;; [unrolled: 1-line block ×4, first 2 shown]
s_waitcnt 0                                        // wait for swizzle operation
v_accvgpr_write_b32 acc34, v5                      // 
v_accvgpr_write_b32 acc98, v6                      // 
v_accvgpr_write_b32 acc162, v7                     // 
v_accvgpr_write_b32 acc226, v8                     // 
v_accvgpr_read_b32 v5, acc50                       // glvw 8 mb 0 tt1 11 r 0
v_accvgpr_read_b32 v6, acc114                      // glvw 8 mb 0 tt1 11 r 0
v_accvgpr_read_b32 v7, acc178                      // glvw 8 mb 0 tt1 11 r 0
v_accvgpr_read_b32 v8, acc242                      // glvw 8 mb 0 tt1 11 r 0
s_nop 1                                            // v_accvgpr read vgpr after write vgpr: 2 wait states
ds_bpermute_b32 v5, v0, v5, offset:8               // permute edge values
ds_bpermute_b32 v6, v0, v6, offset:8               // permute edge values
	;; [unrolled: 1-line block ×4, first 2 shown]
s_waitcnt 0                                        // wait for swizzle operation
v_accvgpr_write_b32 acc50, v5                      // 
v_accvgpr_write_b32 acc114, v6                     // 
v_accvgpr_write_b32 acc178, v7                     // 
v_accvgpr_write_b32 acc242, v8                     // 
v_accvgpr_read_b32 v5, acc3                        // glvw 8 mb 0 tt1 12 r 0
v_accvgpr_read_b32 v6, acc67                       // glvw 8 mb 0 tt1 12 r 0
v_accvgpr_read_b32 v7, acc131                      // glvw 8 mb 0 tt1 12 r 0
v_accvgpr_read_b32 v8, acc195                      // glvw 8 mb 0 tt1 12 r 0
s_nop 1                                            // v_accvgpr read vgpr after write vgpr: 2 wait states
ds_bpermute_b32 v5, v0, v5, offset:8               // permute edge values
ds_bpermute_b32 v6, v0, v6, offset:8               // permute edge values
	;; [unrolled: 1-line block ×4, first 2 shown]
s_waitcnt 0                                        // wait for swizzle operation
v_accvgpr_write_b32 acc3, v5                       // 
v_accvgpr_write_b32 acc67, v6                      // 
v_accvgpr_write_b32 acc131, v7                     // 
v_accvgpr_write_b32 acc195, v8                     // 
v_accvgpr_read_b32 v5, acc19                       // glvw 8 mb 0 tt1 13 r 0
v_accvgpr_read_b32 v6, acc83                       // glvw 8 mb 0 tt1 13 r 0
v_accvgpr_read_b32 v7, acc147                      // glvw 8 mb 0 tt1 13 r 0
v_accvgpr_read_b32 v8, acc211                      // glvw 8 mb 0 tt1 13 r 0
s_nop 1                                            // v_accvgpr read vgpr after write vgpr: 2 wait states
ds_bpermute_b32 v5, v0, v5, offset:8               // permute edge values
ds_bpermute_b32 v6, v0, v6, offset:8               // permute edge values
	;; [unrolled: 1-line block ×4, first 2 shown]
s_waitcnt 0                                        // wait for swizzle operation
v_accvgpr_write_b32 acc19, v5                      // 
v_accvgpr_write_b32 acc83, v6                      // 
v_accvgpr_write_b32 acc147, v7                     // 
v_accvgpr_write_b32 acc211, v8                     // 
v_accvgpr_read_b32 v5, acc35                       // glvw 8 mb 0 tt1 14 r 0
v_accvgpr_read_b32 v6, acc99                       // glvw 8 mb 0 tt1 14 r 0
v_accvgpr_read_b32 v7, acc163                      // glvw 8 mb 0 tt1 14 r 0
v_accvgpr_read_b32 v8, acc227                      // glvw 8 mb 0 tt1 14 r 0
s_nop 1                                            // v_accvgpr read vgpr after write vgpr: 2 wait states
ds_bpermute_b32 v5, v0, v5, offset:8               // permute edge values
ds_bpermute_b32 v6, v0, v6, offset:8               // permute edge values
	;; [unrolled: 1-line block ×4, first 2 shown]
s_waitcnt 0                                        // wait for swizzle operation
v_accvgpr_write_b32 acc35, v5                      // 
v_accvgpr_write_b32 acc99, v6                      // 
v_accvgpr_write_b32 acc163, v7                     // 
v_accvgpr_write_b32 acc227, v8                     // 
v_accvgpr_read_b32 v5, acc51                       // glvw 8 mb 0 tt1 15 r 0
v_accvgpr_read_b32 v6, acc115                      // glvw 8 mb 0 tt1 15 r 0
v_accvgpr_read_b32 v7, acc179                      // glvw 8 mb 0 tt1 15 r 0
v_accvgpr_read_b32 v8, acc243                      // glvw 8 mb 0 tt1 15 r 0
s_nop 1                                            // v_accvgpr read vgpr after write vgpr: 2 wait states
ds_bpermute_b32 v5, v0, v5, offset:8               // permute edge values
ds_bpermute_b32 v6, v0, v6, offset:8               // permute edge values
	;; [unrolled: 1-line block ×4, first 2 shown]
s_waitcnt 0                                        // wait for swizzle operation
v_accvgpr_write_b32 acc51, v5                      // 
v_accvgpr_write_b32 acc115, v6                     // 
v_accvgpr_write_b32 acc179, v7                     // 
v_accvgpr_write_b32 acc243, v8                     // 
v_accvgpr_read_b32 v5, acc4                        // glvw 8 mb 0 tt1 16 r 0
v_accvgpr_read_b32 v6, acc68                       // glvw 8 mb 0 tt1 16 r 0
v_accvgpr_read_b32 v7, acc132                      // glvw 8 mb 0 tt1 16 r 0
v_accvgpr_read_b32 v8, acc196                      // glvw 8 mb 0 tt1 16 r 0
s_nop 1                                            // v_accvgpr read vgpr after write vgpr: 2 wait states
ds_bpermute_b32 v5, v0, v5, offset:8               // permute edge values
ds_bpermute_b32 v6, v0, v6, offset:8               // permute edge values
	;; [unrolled: 1-line block ×4, first 2 shown]
s_waitcnt 0                                        // wait for swizzle operation
v_accvgpr_write_b32 acc4, v5                       // 
v_accvgpr_write_b32 acc68, v6                      // 
v_accvgpr_write_b32 acc132, v7                     // 
v_accvgpr_write_b32 acc196, v8                     // 
v_accvgpr_read_b32 v5, acc20                       // glvw 8 mb 0 tt1 17 r 0
v_accvgpr_read_b32 v6, acc84                       // glvw 8 mb 0 tt1 17 r 0
v_accvgpr_read_b32 v7, acc148                      // glvw 8 mb 0 tt1 17 r 0
v_accvgpr_read_b32 v8, acc212                      // glvw 8 mb 0 tt1 17 r 0
s_nop 1                                            // v_accvgpr read vgpr after write vgpr: 2 wait states
ds_bpermute_b32 v5, v0, v5, offset:8               // permute edge values
ds_bpermute_b32 v6, v0, v6, offset:8               // permute edge values
ds_bpermute_b32 v7, v0, v7, offset:8               // permute edge values
ds_bpermute_b32 v8, v0, v8, offset:8               // permute edge values
s_waitcnt 0                                        // wait for swizzle operation
v_accvgpr_write_b32 acc20, v5                      // 
v_accvgpr_write_b32 acc84, v6                      // 
v_accvgpr_write_b32 acc148, v7                     // 
v_accvgpr_write_b32 acc212, v8                     // 
v_accvgpr_read_b32 v5, acc36                       // glvw 8 mb 0 tt1 18 r 0
v_accvgpr_read_b32 v6, acc100                      // glvw 8 mb 0 tt1 18 r 0
v_accvgpr_read_b32 v7, acc164                      // glvw 8 mb 0 tt1 18 r 0
v_accvgpr_read_b32 v8, acc228                      // glvw 8 mb 0 tt1 18 r 0
s_nop 1                                            // v_accvgpr read vgpr after write vgpr: 2 wait states
ds_bpermute_b32 v5, v0, v5, offset:8               // permute edge values
ds_bpermute_b32 v6, v0, v6, offset:8               // permute edge values
	;; [unrolled: 1-line block ×4, first 2 shown]
s_waitcnt 0                                        // wait for swizzle operation
v_accvgpr_write_b32 acc36, v5                      // 
v_accvgpr_write_b32 acc100, v6                     // 
v_accvgpr_write_b32 acc164, v7                     // 
v_accvgpr_write_b32 acc228, v8                     // 
v_accvgpr_read_b32 v5, acc52                       // glvw 8 mb 0 tt1 19 r 0
v_accvgpr_read_b32 v6, acc116                      // glvw 8 mb 0 tt1 19 r 0
v_accvgpr_read_b32 v7, acc180                      // glvw 8 mb 0 tt1 19 r 0
v_accvgpr_read_b32 v8, acc244                      // glvw 8 mb 0 tt1 19 r 0
s_nop 1                                            // v_accvgpr read vgpr after write vgpr: 2 wait states
ds_bpermute_b32 v5, v0, v5, offset:8               // permute edge values
ds_bpermute_b32 v6, v0, v6, offset:8               // permute edge values
	;; [unrolled: 1-line block ×4, first 2 shown]
s_waitcnt 0                                        // wait for swizzle operation
v_accvgpr_write_b32 acc52, v5                      // 
v_accvgpr_write_b32 acc116, v6                     // 
v_accvgpr_write_b32 acc180, v7                     // 
v_accvgpr_write_b32 acc244, v8                     // 
v_accvgpr_read_b32 v5, acc5                        // glvw 8 mb 0 tt1 20 r 0
v_accvgpr_read_b32 v6, acc69                       // glvw 8 mb 0 tt1 20 r 0
v_accvgpr_read_b32 v7, acc133                      // glvw 8 mb 0 tt1 20 r 0
v_accvgpr_read_b32 v8, acc197                      // glvw 8 mb 0 tt1 20 r 0
s_nop 1                                            // v_accvgpr read vgpr after write vgpr: 2 wait states
ds_bpermute_b32 v5, v0, v5, offset:8               // permute edge values
ds_bpermute_b32 v6, v0, v6, offset:8               // permute edge values
	;; [unrolled: 1-line block ×4, first 2 shown]
s_waitcnt 0                                        // wait for swizzle operation
v_accvgpr_write_b32 acc5, v5                       // 
v_accvgpr_write_b32 acc69, v6                      // 
v_accvgpr_write_b32 acc133, v7                     // 
v_accvgpr_write_b32 acc197, v8                     // 
v_accvgpr_read_b32 v5, acc21                       // glvw 8 mb 0 tt1 21 r 0
v_accvgpr_read_b32 v6, acc85                       // glvw 8 mb 0 tt1 21 r 0
v_accvgpr_read_b32 v7, acc149                      // glvw 8 mb 0 tt1 21 r 0
v_accvgpr_read_b32 v8, acc213                      // glvw 8 mb 0 tt1 21 r 0
s_nop 1                                            // v_accvgpr read vgpr after write vgpr: 2 wait states
ds_bpermute_b32 v5, v0, v5, offset:8               // permute edge values
ds_bpermute_b32 v6, v0, v6, offset:8               // permute edge values
	;; [unrolled: 1-line block ×4, first 2 shown]
s_waitcnt 0                                        // wait for swizzle operation
v_accvgpr_write_b32 acc21, v5                      // 
v_accvgpr_write_b32 acc85, v6                      // 
v_accvgpr_write_b32 acc149, v7                     // 
v_accvgpr_write_b32 acc213, v8                     // 
v_accvgpr_read_b32 v5, acc37                       // glvw 8 mb 0 tt1 22 r 0
v_accvgpr_read_b32 v6, acc101                      // glvw 8 mb 0 tt1 22 r 0
v_accvgpr_read_b32 v7, acc165                      // glvw 8 mb 0 tt1 22 r 0
v_accvgpr_read_b32 v8, acc229                      // glvw 8 mb 0 tt1 22 r 0
s_nop 1                                            // v_accvgpr read vgpr after write vgpr: 2 wait states
ds_bpermute_b32 v5, v0, v5, offset:8               // permute edge values
ds_bpermute_b32 v6, v0, v6, offset:8               // permute edge values
	;; [unrolled: 1-line block ×4, first 2 shown]
s_waitcnt 0                                        // wait for swizzle operation
v_accvgpr_write_b32 acc37, v5                      // 
v_accvgpr_write_b32 acc101, v6                     // 
v_accvgpr_write_b32 acc165, v7                     // 
v_accvgpr_write_b32 acc229, v8                     // 
v_accvgpr_read_b32 v5, acc53                       // glvw 8 mb 0 tt1 23 r 0
v_accvgpr_read_b32 v6, acc117                      // glvw 8 mb 0 tt1 23 r 0
v_accvgpr_read_b32 v7, acc181                      // glvw 8 mb 0 tt1 23 r 0
v_accvgpr_read_b32 v8, acc245                      // glvw 8 mb 0 tt1 23 r 0
s_nop 1                                            // v_accvgpr read vgpr after write vgpr: 2 wait states
ds_bpermute_b32 v5, v0, v5, offset:8               // permute edge values
ds_bpermute_b32 v6, v0, v6, offset:8               // permute edge values
	;; [unrolled: 1-line block ×4, first 2 shown]
s_waitcnt 0                                        // wait for swizzle operation
v_accvgpr_write_b32 acc53, v5                      // 
v_accvgpr_write_b32 acc117, v6                     // 
v_accvgpr_write_b32 acc181, v7                     // 
v_accvgpr_write_b32 acc245, v8                     // 
v_accvgpr_read_b32 v5, acc6                        // glvw 8 mb 0 tt1 24 r 0
v_accvgpr_read_b32 v6, acc70                       // glvw 8 mb 0 tt1 24 r 0
v_accvgpr_read_b32 v7, acc134                      // glvw 8 mb 0 tt1 24 r 0
v_accvgpr_read_b32 v8, acc198                      // glvw 8 mb 0 tt1 24 r 0
s_nop 1                                            // v_accvgpr read vgpr after write vgpr: 2 wait states
ds_bpermute_b32 v5, v0, v5, offset:8               // permute edge values
ds_bpermute_b32 v6, v0, v6, offset:8               // permute edge values
ds_bpermute_b32 v7, v0, v7, offset:8               // permute edge values
ds_bpermute_b32 v8, v0, v8, offset:8               // permute edge values
s_waitcnt 0                                        // wait for swizzle operation
v_accvgpr_write_b32 acc6, v5                       // 
v_accvgpr_write_b32 acc70, v6                      // 
v_accvgpr_write_b32 acc134, v7                     // 
v_accvgpr_write_b32 acc198, v8                     // 
v_accvgpr_read_b32 v5, acc22                       // glvw 8 mb 0 tt1 25 r 0
v_accvgpr_read_b32 v6, acc86                       // glvw 8 mb 0 tt1 25 r 0
v_accvgpr_read_b32 v7, acc150                      // glvw 8 mb 0 tt1 25 r 0
v_accvgpr_read_b32 v8, acc214                      // glvw 8 mb 0 tt1 25 r 0
s_nop 1                                            // v_accvgpr read vgpr after write vgpr: 2 wait states
ds_bpermute_b32 v5, v0, v5, offset:8               // permute edge values
ds_bpermute_b32 v6, v0, v6, offset:8               // permute edge values
	;; [unrolled: 1-line block ×4, first 2 shown]
s_waitcnt 0                                        // wait for swizzle operation
v_accvgpr_write_b32 acc22, v5                      // 
v_accvgpr_write_b32 acc86, v6                      // 
v_accvgpr_write_b32 acc150, v7                     // 
v_accvgpr_write_b32 acc214, v8                     // 
v_accvgpr_read_b32 v5, acc38                       // glvw 8 mb 0 tt1 26 r 0
v_accvgpr_read_b32 v6, acc102                      // glvw 8 mb 0 tt1 26 r 0
v_accvgpr_read_b32 v7, acc166                      // glvw 8 mb 0 tt1 26 r 0
v_accvgpr_read_b32 v8, acc230                      // glvw 8 mb 0 tt1 26 r 0
s_nop 1                                            // v_accvgpr read vgpr after write vgpr: 2 wait states
ds_bpermute_b32 v5, v0, v5, offset:8               // permute edge values
ds_bpermute_b32 v6, v0, v6, offset:8               // permute edge values
	;; [unrolled: 1-line block ×4, first 2 shown]
s_waitcnt 0                                        // wait for swizzle operation
v_accvgpr_write_b32 acc38, v5                      // 
v_accvgpr_write_b32 acc102, v6                     // 
v_accvgpr_write_b32 acc166, v7                     // 
v_accvgpr_write_b32 acc230, v8                     // 
v_accvgpr_read_b32 v5, acc54                       // glvw 8 mb 0 tt1 27 r 0
v_accvgpr_read_b32 v6, acc118                      // glvw 8 mb 0 tt1 27 r 0
v_accvgpr_read_b32 v7, acc182                      // glvw 8 mb 0 tt1 27 r 0
v_accvgpr_read_b32 v8, acc246                      // glvw 8 mb 0 tt1 27 r 0
s_nop 1                                            // v_accvgpr read vgpr after write vgpr: 2 wait states
ds_bpermute_b32 v5, v0, v5, offset:8               // permute edge values
ds_bpermute_b32 v6, v0, v6, offset:8               // permute edge values
	;; [unrolled: 1-line block ×4, first 2 shown]
s_waitcnt 0                                        // wait for swizzle operation
v_accvgpr_write_b32 acc54, v5                      // 
v_accvgpr_write_b32 acc118, v6                     // 
v_accvgpr_write_b32 acc182, v7                     // 
v_accvgpr_write_b32 acc246, v8                     // 
v_accvgpr_read_b32 v5, acc7                        // glvw 8 mb 0 tt1 28 r 0
v_accvgpr_read_b32 v6, acc71                       // glvw 8 mb 0 tt1 28 r 0
v_accvgpr_read_b32 v7, acc135                      // glvw 8 mb 0 tt1 28 r 0
v_accvgpr_read_b32 v8, acc199                      // glvw 8 mb 0 tt1 28 r 0
s_nop 1                                            // v_accvgpr read vgpr after write vgpr: 2 wait states
ds_bpermute_b32 v5, v0, v5, offset:8               // permute edge values
ds_bpermute_b32 v6, v0, v6, offset:8               // permute edge values
	;; [unrolled: 1-line block ×4, first 2 shown]
s_waitcnt 0                                        // wait for swizzle operation
v_accvgpr_write_b32 acc7, v5                       // 
v_accvgpr_write_b32 acc71, v6                      // 
v_accvgpr_write_b32 acc135, v7                     // 
v_accvgpr_write_b32 acc199, v8                     // 
v_accvgpr_read_b32 v5, acc23                       // glvw 8 mb 0 tt1 29 r 0
v_accvgpr_read_b32 v6, acc87                       // glvw 8 mb 0 tt1 29 r 0
v_accvgpr_read_b32 v7, acc151                      // glvw 8 mb 0 tt1 29 r 0
v_accvgpr_read_b32 v8, acc215                      // glvw 8 mb 0 tt1 29 r 0
s_nop 1                                            // v_accvgpr read vgpr after write vgpr: 2 wait states
ds_bpermute_b32 v5, v0, v5, offset:8               // permute edge values
ds_bpermute_b32 v6, v0, v6, offset:8               // permute edge values
	;; [unrolled: 1-line block ×4, first 2 shown]
s_waitcnt 0                                        // wait for swizzle operation
v_accvgpr_write_b32 acc23, v5                      // 
v_accvgpr_write_b32 acc87, v6                      // 
v_accvgpr_write_b32 acc151, v7                     // 
v_accvgpr_write_b32 acc215, v8                     // 
v_accvgpr_read_b32 v5, acc39                       // glvw 8 mb 0 tt1 30 r 0
v_accvgpr_read_b32 v6, acc103                      // glvw 8 mb 0 tt1 30 r 0
v_accvgpr_read_b32 v7, acc167                      // glvw 8 mb 0 tt1 30 r 0
v_accvgpr_read_b32 v8, acc231                      // glvw 8 mb 0 tt1 30 r 0
s_nop 1                                            // v_accvgpr read vgpr after write vgpr: 2 wait states
ds_bpermute_b32 v5, v0, v5, offset:8               // permute edge values
ds_bpermute_b32 v6, v0, v6, offset:8               // permute edge values
ds_bpermute_b32 v7, v0, v7, offset:8               // permute edge values
ds_bpermute_b32 v8, v0, v8, offset:8               // permute edge values
s_waitcnt 0                                        // wait for swizzle operation
v_accvgpr_write_b32 acc39, v5                      // 
v_accvgpr_write_b32 acc103, v6                     // 
v_accvgpr_write_b32 acc167, v7                     // 
v_accvgpr_write_b32 acc231, v8                     // 
v_accvgpr_read_b32 v5, acc55                       // glvw 8 mb 0 tt1 31 r 0
v_accvgpr_read_b32 v6, acc119                      // glvw 8 mb 0 tt1 31 r 0
v_accvgpr_read_b32 v7, acc183                      // glvw 8 mb 0 tt1 31 r 0
v_accvgpr_read_b32 v8, acc247                      // glvw 8 mb 0 tt1 31 r 0
s_nop 1                                            // v_accvgpr read vgpr after write vgpr: 2 wait states
ds_bpermute_b32 v5, v0, v5, offset:8               // permute edge values
ds_bpermute_b32 v6, v0, v6, offset:8               // permute edge values
	;; [unrolled: 1-line block ×4, first 2 shown]
s_waitcnt 0                                        // wait for swizzle operation
v_accvgpr_write_b32 acc55, v5                      // 
v_accvgpr_write_b32 acc119, v6                     // 
v_accvgpr_write_b32 acc183, v7                     // 
v_accvgpr_write_b32 acc247, v8                     // 
v_accvgpr_read_b32 v5, acc8                        // glvw 8 mb 0 tt1 32 r 0
v_accvgpr_read_b32 v6, acc72                       // glvw 8 mb 0 tt1 32 r 0
v_accvgpr_read_b32 v7, acc136                      // glvw 8 mb 0 tt1 32 r 0
v_accvgpr_read_b32 v8, acc200                      // glvw 8 mb 0 tt1 32 r 0
s_nop 1                                            // v_accvgpr read vgpr after write vgpr: 2 wait states
ds_bpermute_b32 v5, v0, v5, offset:8               // permute edge values
ds_bpermute_b32 v6, v0, v6, offset:8               // permute edge values
	;; [unrolled: 1-line block ×4, first 2 shown]
s_waitcnt 0                                        // wait for swizzle operation
v_accvgpr_write_b32 acc8, v5                       // 
v_accvgpr_write_b32 acc72, v6                      // 
v_accvgpr_write_b32 acc136, v7                     // 
v_accvgpr_write_b32 acc200, v8                     // 
v_accvgpr_read_b32 v5, acc24                       // glvw 8 mb 0 tt1 33 r 0
v_accvgpr_read_b32 v6, acc88                       // glvw 8 mb 0 tt1 33 r 0
v_accvgpr_read_b32 v7, acc152                      // glvw 8 mb 0 tt1 33 r 0
v_accvgpr_read_b32 v8, acc216                      // glvw 8 mb 0 tt1 33 r 0
s_nop 1                                            // v_accvgpr read vgpr after write vgpr: 2 wait states
ds_bpermute_b32 v5, v0, v5, offset:8               // permute edge values
ds_bpermute_b32 v6, v0, v6, offset:8               // permute edge values
	;; [unrolled: 1-line block ×4, first 2 shown]
s_waitcnt 0                                        // wait for swizzle operation
v_accvgpr_write_b32 acc24, v5                      // 
v_accvgpr_write_b32 acc88, v6                      // 
v_accvgpr_write_b32 acc152, v7                     // 
v_accvgpr_write_b32 acc216, v8                     // 
v_accvgpr_read_b32 v5, acc40                       // glvw 8 mb 0 tt1 34 r 0
v_accvgpr_read_b32 v6, acc104                      // glvw 8 mb 0 tt1 34 r 0
v_accvgpr_read_b32 v7, acc168                      // glvw 8 mb 0 tt1 34 r 0
v_accvgpr_read_b32 v8, acc232                      // glvw 8 mb 0 tt1 34 r 0
s_nop 1                                            // v_accvgpr read vgpr after write vgpr: 2 wait states
ds_bpermute_b32 v5, v0, v5, offset:8               // permute edge values
ds_bpermute_b32 v6, v0, v6, offset:8               // permute edge values
	;; [unrolled: 1-line block ×4, first 2 shown]
s_waitcnt 0                                        // wait for swizzle operation
v_accvgpr_write_b32 acc40, v5                      // 
v_accvgpr_write_b32 acc104, v6                     // 
v_accvgpr_write_b32 acc168, v7                     // 
v_accvgpr_write_b32 acc232, v8                     // 
v_accvgpr_read_b32 v5, acc56                       // glvw 8 mb 0 tt1 35 r 0
v_accvgpr_read_b32 v6, acc120                      // glvw 8 mb 0 tt1 35 r 0
v_accvgpr_read_b32 v7, acc184                      // glvw 8 mb 0 tt1 35 r 0
v_accvgpr_read_b32 v8, acc248                      // glvw 8 mb 0 tt1 35 r 0
s_nop 1                                            // v_accvgpr read vgpr after write vgpr: 2 wait states
ds_bpermute_b32 v5, v0, v5, offset:8               // permute edge values
ds_bpermute_b32 v6, v0, v6, offset:8               // permute edge values
ds_bpermute_b32 v7, v0, v7, offset:8               // permute edge values
ds_bpermute_b32 v8, v0, v8, offset:8               // permute edge values
s_waitcnt 0                                        // wait for swizzle operation
v_accvgpr_write_b32 acc56, v5                      // 
v_accvgpr_write_b32 acc120, v6                     // 
v_accvgpr_write_b32 acc184, v7                     // 
v_accvgpr_write_b32 acc248, v8                     // 
v_accvgpr_read_b32 v5, acc9                        // glvw 8 mb 0 tt1 36 r 0
v_accvgpr_read_b32 v6, acc73                       // glvw 8 mb 0 tt1 36 r 0
v_accvgpr_read_b32 v7, acc137                      // glvw 8 mb 0 tt1 36 r 0
v_accvgpr_read_b32 v8, acc201                      // glvw 8 mb 0 tt1 36 r 0
s_nop 1                                            // v_accvgpr read vgpr after write vgpr: 2 wait states
ds_bpermute_b32 v5, v0, v5, offset:8               // permute edge values
ds_bpermute_b32 v6, v0, v6, offset:8               // permute edge values
	;; [unrolled: 1-line block ×4, first 2 shown]
s_waitcnt 0                                        // wait for swizzle operation
v_accvgpr_write_b32 acc9, v5                       // 
v_accvgpr_write_b32 acc73, v6                      // 
v_accvgpr_write_b32 acc137, v7                     // 
v_accvgpr_write_b32 acc201, v8                     // 
v_accvgpr_read_b32 v5, acc25                       // glvw 8 mb 0 tt1 37 r 0
v_accvgpr_read_b32 v6, acc89                       // glvw 8 mb 0 tt1 37 r 0
v_accvgpr_read_b32 v7, acc153                      // glvw 8 mb 0 tt1 37 r 0
v_accvgpr_read_b32 v8, acc217                      // glvw 8 mb 0 tt1 37 r 0
s_nop 1                                            // v_accvgpr read vgpr after write vgpr: 2 wait states
ds_bpermute_b32 v5, v0, v5, offset:8               // permute edge values
ds_bpermute_b32 v6, v0, v6, offset:8               // permute edge values
	;; [unrolled: 1-line block ×4, first 2 shown]
s_waitcnt 0                                        // wait for swizzle operation
v_accvgpr_write_b32 acc25, v5                      // 
v_accvgpr_write_b32 acc89, v6                      // 
v_accvgpr_write_b32 acc153, v7                     // 
v_accvgpr_write_b32 acc217, v8                     // 
v_accvgpr_read_b32 v5, acc41                       // glvw 8 mb 0 tt1 38 r 0
v_accvgpr_read_b32 v6, acc105                      // glvw 8 mb 0 tt1 38 r 0
v_accvgpr_read_b32 v7, acc169                      // glvw 8 mb 0 tt1 38 r 0
v_accvgpr_read_b32 v8, acc233                      // glvw 8 mb 0 tt1 38 r 0
s_nop 1                                            // v_accvgpr read vgpr after write vgpr: 2 wait states
ds_bpermute_b32 v5, v0, v5, offset:8               // permute edge values
ds_bpermute_b32 v6, v0, v6, offset:8               // permute edge values
	;; [unrolled: 1-line block ×4, first 2 shown]
s_waitcnt 0                                        // wait for swizzle operation
v_accvgpr_write_b32 acc41, v5                      // 
v_accvgpr_write_b32 acc105, v6                     // 
v_accvgpr_write_b32 acc169, v7                     // 
v_accvgpr_write_b32 acc233, v8                     // 
v_accvgpr_read_b32 v5, acc57                       // glvw 8 mb 0 tt1 39 r 0
v_accvgpr_read_b32 v6, acc121                      // glvw 8 mb 0 tt1 39 r 0
v_accvgpr_read_b32 v7, acc185                      // glvw 8 mb 0 tt1 39 r 0
v_accvgpr_read_b32 v8, acc249                      // glvw 8 mb 0 tt1 39 r 0
s_nop 1                                            // v_accvgpr read vgpr after write vgpr: 2 wait states
ds_bpermute_b32 v5, v0, v5, offset:8               // permute edge values
ds_bpermute_b32 v6, v0, v6, offset:8               // permute edge values
ds_bpermute_b32 v7, v0, v7, offset:8               // permute edge values
ds_bpermute_b32 v8, v0, v8, offset:8               // permute edge values
s_waitcnt 0                                        // wait for swizzle operation
v_accvgpr_write_b32 acc57, v5                      // 
v_accvgpr_write_b32 acc121, v6                     // 
v_accvgpr_write_b32 acc185, v7                     // 
v_accvgpr_write_b32 acc249, v8                     // 
v_accvgpr_read_b32 v5, acc10                       // glvw 8 mb 0 tt1 40 r 0
v_accvgpr_read_b32 v6, acc74                       // glvw 8 mb 0 tt1 40 r 0
v_accvgpr_read_b32 v7, acc138                      // glvw 8 mb 0 tt1 40 r 0
v_accvgpr_read_b32 v8, acc202                      // glvw 8 mb 0 tt1 40 r 0
s_nop 1                                            // v_accvgpr read vgpr after write vgpr: 2 wait states
ds_bpermute_b32 v5, v0, v5, offset:8               // permute edge values
ds_bpermute_b32 v6, v0, v6, offset:8               // permute edge values
	;; [unrolled: 1-line block ×4, first 2 shown]
s_waitcnt 0                                        // wait for swizzle operation
v_accvgpr_write_b32 acc10, v5                      // 
v_accvgpr_write_b32 acc74, v6                      // 
v_accvgpr_write_b32 acc138, v7                     // 
v_accvgpr_write_b32 acc202, v8                     // 
v_accvgpr_read_b32 v5, acc26                       // glvw 8 mb 0 tt1 41 r 0
v_accvgpr_read_b32 v6, acc90                       // glvw 8 mb 0 tt1 41 r 0
v_accvgpr_read_b32 v7, acc154                      // glvw 8 mb 0 tt1 41 r 0
v_accvgpr_read_b32 v8, acc218                      // glvw 8 mb 0 tt1 41 r 0
s_nop 1                                            // v_accvgpr read vgpr after write vgpr: 2 wait states
ds_bpermute_b32 v5, v0, v5, offset:8               // permute edge values
ds_bpermute_b32 v6, v0, v6, offset:8               // permute edge values
	;; [unrolled: 1-line block ×4, first 2 shown]
s_waitcnt 0                                        // wait for swizzle operation
v_accvgpr_write_b32 acc26, v5                      // 
v_accvgpr_write_b32 acc90, v6                      // 
v_accvgpr_write_b32 acc154, v7                     // 
v_accvgpr_write_b32 acc218, v8                     // 
v_accvgpr_read_b32 v5, acc42                       // glvw 8 mb 0 tt1 42 r 0
v_accvgpr_read_b32 v6, acc106                      // glvw 8 mb 0 tt1 42 r 0
v_accvgpr_read_b32 v7, acc170                      // glvw 8 mb 0 tt1 42 r 0
v_accvgpr_read_b32 v8, acc234                      // glvw 8 mb 0 tt1 42 r 0
s_nop 1                                            // v_accvgpr read vgpr after write vgpr: 2 wait states
ds_bpermute_b32 v5, v0, v5, offset:8               // permute edge values
ds_bpermute_b32 v6, v0, v6, offset:8               // permute edge values
	;; [unrolled: 1-line block ×4, first 2 shown]
s_waitcnt 0                                        // wait for swizzle operation
v_accvgpr_write_b32 acc42, v5                      // 
v_accvgpr_write_b32 acc106, v6                     // 
v_accvgpr_write_b32 acc170, v7                     // 
v_accvgpr_write_b32 acc234, v8                     // 
v_accvgpr_read_b32 v5, acc58                       // glvw 8 mb 0 tt1 43 r 0
v_accvgpr_read_b32 v6, acc122                      // glvw 8 mb 0 tt1 43 r 0
v_accvgpr_read_b32 v7, acc186                      // glvw 8 mb 0 tt1 43 r 0
v_accvgpr_read_b32 v8, acc250                      // glvw 8 mb 0 tt1 43 r 0
s_nop 1                                            // v_accvgpr read vgpr after write vgpr: 2 wait states
ds_bpermute_b32 v5, v0, v5, offset:8               // permute edge values
ds_bpermute_b32 v6, v0, v6, offset:8               // permute edge values
ds_bpermute_b32 v7, v0, v7, offset:8               // permute edge values
ds_bpermute_b32 v8, v0, v8, offset:8               // permute edge values
s_waitcnt 0                                        // wait for swizzle operation
v_accvgpr_write_b32 acc58, v5                      // 
v_accvgpr_write_b32 acc122, v6                     // 
v_accvgpr_write_b32 acc186, v7                     // 
v_accvgpr_write_b32 acc250, v8                     // 
v_accvgpr_read_b32 v5, acc11                       // glvw 8 mb 0 tt1 44 r 0
v_accvgpr_read_b32 v6, acc75                       // glvw 8 mb 0 tt1 44 r 0
v_accvgpr_read_b32 v7, acc139                      // glvw 8 mb 0 tt1 44 r 0
v_accvgpr_read_b32 v8, acc203                      // glvw 8 mb 0 tt1 44 r 0
s_nop 1                                            // v_accvgpr read vgpr after write vgpr: 2 wait states
ds_bpermute_b32 v5, v0, v5, offset:8               // permute edge values
ds_bpermute_b32 v6, v0, v6, offset:8               // permute edge values
	;; [unrolled: 1-line block ×4, first 2 shown]
s_waitcnt 0                                        // wait for swizzle operation
v_accvgpr_write_b32 acc11, v5                      // 
v_accvgpr_write_b32 acc75, v6                      // 
v_accvgpr_write_b32 acc139, v7                     // 
v_accvgpr_write_b32 acc203, v8                     // 
v_accvgpr_read_b32 v5, acc27                       // glvw 8 mb 0 tt1 45 r 0
v_accvgpr_read_b32 v6, acc91                       // glvw 8 mb 0 tt1 45 r 0
v_accvgpr_read_b32 v7, acc155                      // glvw 8 mb 0 tt1 45 r 0
v_accvgpr_read_b32 v8, acc219                      // glvw 8 mb 0 tt1 45 r 0
s_nop 1                                            // v_accvgpr read vgpr after write vgpr: 2 wait states
ds_bpermute_b32 v5, v0, v5, offset:8               // permute edge values
ds_bpermute_b32 v6, v0, v6, offset:8               // permute edge values
	;; [unrolled: 1-line block ×4, first 2 shown]
s_waitcnt 0                                        // wait for swizzle operation
v_accvgpr_write_b32 acc27, v5                      // 
v_accvgpr_write_b32 acc91, v6                      // 
v_accvgpr_write_b32 acc155, v7                     // 
v_accvgpr_write_b32 acc219, v8                     // 
v_accvgpr_read_b32 v5, acc43                       // glvw 8 mb 0 tt1 46 r 0
v_accvgpr_read_b32 v6, acc107                      // glvw 8 mb 0 tt1 46 r 0
v_accvgpr_read_b32 v7, acc171                      // glvw 8 mb 0 tt1 46 r 0
v_accvgpr_read_b32 v8, acc235                      // glvw 8 mb 0 tt1 46 r 0
s_nop 1                                            // v_accvgpr read vgpr after write vgpr: 2 wait states
ds_bpermute_b32 v5, v0, v5, offset:8               // permute edge values
ds_bpermute_b32 v6, v0, v6, offset:8               // permute edge values
	;; [unrolled: 1-line block ×4, first 2 shown]
s_waitcnt 0                                        // wait for swizzle operation
v_accvgpr_write_b32 acc43, v5                      // 
v_accvgpr_write_b32 acc107, v6                     // 
v_accvgpr_write_b32 acc171, v7                     // 
v_accvgpr_write_b32 acc235, v8                     // 
v_accvgpr_read_b32 v5, acc59                       // glvw 8 mb 0 tt1 47 r 0
v_accvgpr_read_b32 v6, acc123                      // glvw 8 mb 0 tt1 47 r 0
v_accvgpr_read_b32 v7, acc187                      // glvw 8 mb 0 tt1 47 r 0
v_accvgpr_read_b32 v8, acc251                      // glvw 8 mb 0 tt1 47 r 0
s_nop 1                                            // v_accvgpr read vgpr after write vgpr: 2 wait states
ds_bpermute_b32 v5, v0, v5, offset:8               // permute edge values
ds_bpermute_b32 v6, v0, v6, offset:8               // permute edge values
	;; [unrolled: 1-line block ×4, first 2 shown]
s_waitcnt 0                                        // wait for swizzle operation
v_accvgpr_write_b32 acc59, v5                      // 
v_accvgpr_write_b32 acc123, v6                     // 
v_accvgpr_write_b32 acc187, v7                     // 
v_accvgpr_write_b32 acc251, v8                     // 
v_accvgpr_read_b32 v5, acc12                       // glvw 8 mb 0 tt1 48 r 0
v_accvgpr_read_b32 v6, acc76                       // glvw 8 mb 0 tt1 48 r 0
v_accvgpr_read_b32 v7, acc140                      // glvw 8 mb 0 tt1 48 r 0
v_accvgpr_read_b32 v8, acc204                      // glvw 8 mb 0 tt1 48 r 0
s_nop 1                                            // v_accvgpr read vgpr after write vgpr: 2 wait states
ds_bpermute_b32 v5, v0, v5, offset:8               // permute edge values
ds_bpermute_b32 v6, v0, v6, offset:8               // permute edge values
	;; [unrolled: 1-line block ×4, first 2 shown]
s_waitcnt 0                                        // wait for swizzle operation
v_accvgpr_write_b32 acc12, v5                      // 
v_accvgpr_write_b32 acc76, v6                      // 
v_accvgpr_write_b32 acc140, v7                     // 
v_accvgpr_write_b32 acc204, v8                     // 
v_accvgpr_read_b32 v5, acc28                       // glvw 8 mb 0 tt1 49 r 0
v_accvgpr_read_b32 v6, acc92                       // glvw 8 mb 0 tt1 49 r 0
v_accvgpr_read_b32 v7, acc156                      // glvw 8 mb 0 tt1 49 r 0
v_accvgpr_read_b32 v8, acc220                      // glvw 8 mb 0 tt1 49 r 0
s_nop 1                                            // v_accvgpr read vgpr after write vgpr: 2 wait states
ds_bpermute_b32 v5, v0, v5, offset:8               // permute edge values
ds_bpermute_b32 v6, v0, v6, offset:8               // permute edge values
	;; [unrolled: 1-line block ×4, first 2 shown]
s_waitcnt 0                                        // wait for swizzle operation
v_accvgpr_write_b32 acc28, v5                      // 
v_accvgpr_write_b32 acc92, v6                      // 
v_accvgpr_write_b32 acc156, v7                     // 
v_accvgpr_write_b32 acc220, v8                     // 
v_accvgpr_read_b32 v5, acc44                       // glvw 8 mb 0 tt1 50 r 0
v_accvgpr_read_b32 v6, acc108                      // glvw 8 mb 0 tt1 50 r 0
v_accvgpr_read_b32 v7, acc172                      // glvw 8 mb 0 tt1 50 r 0
v_accvgpr_read_b32 v8, acc236                      // glvw 8 mb 0 tt1 50 r 0
s_nop 1                                            // v_accvgpr read vgpr after write vgpr: 2 wait states
ds_bpermute_b32 v5, v0, v5, offset:8               // permute edge values
ds_bpermute_b32 v6, v0, v6, offset:8               // permute edge values
	;; [unrolled: 1-line block ×4, first 2 shown]
s_waitcnt 0                                        // wait for swizzle operation
v_accvgpr_write_b32 acc44, v5                      // 
v_accvgpr_write_b32 acc108, v6                     // 
v_accvgpr_write_b32 acc172, v7                     // 
v_accvgpr_write_b32 acc236, v8                     // 
v_accvgpr_read_b32 v5, acc60                       // glvw 8 mb 0 tt1 51 r 0
v_accvgpr_read_b32 v6, acc124                      // glvw 8 mb 0 tt1 51 r 0
v_accvgpr_read_b32 v7, acc188                      // glvw 8 mb 0 tt1 51 r 0
v_accvgpr_read_b32 v8, acc252                      // glvw 8 mb 0 tt1 51 r 0
s_nop 1                                            // v_accvgpr read vgpr after write vgpr: 2 wait states
ds_bpermute_b32 v5, v0, v5, offset:8               // permute edge values
ds_bpermute_b32 v6, v0, v6, offset:8               // permute edge values
	;; [unrolled: 1-line block ×4, first 2 shown]
s_waitcnt 0                                        // wait for swizzle operation
v_accvgpr_write_b32 acc60, v5                      // 
v_accvgpr_write_b32 acc124, v6                     // 
v_accvgpr_write_b32 acc188, v7                     // 
v_accvgpr_write_b32 acc252, v8                     // 
v_accvgpr_read_b32 v5, acc13                       // glvw 8 mb 0 tt1 52 r 0
v_accvgpr_read_b32 v6, acc77                       // glvw 8 mb 0 tt1 52 r 0
v_accvgpr_read_b32 v7, acc141                      // glvw 8 mb 0 tt1 52 r 0
v_accvgpr_read_b32 v8, acc205                      // glvw 8 mb 0 tt1 52 r 0
s_nop 1                                            // v_accvgpr read vgpr after write vgpr: 2 wait states
ds_bpermute_b32 v5, v0, v5, offset:8               // permute edge values
ds_bpermute_b32 v6, v0, v6, offset:8               // permute edge values
	;; [unrolled: 1-line block ×4, first 2 shown]
s_waitcnt 0                                        // wait for swizzle operation
v_accvgpr_write_b32 acc13, v5                      // 
v_accvgpr_write_b32 acc77, v6                      // 
v_accvgpr_write_b32 acc141, v7                     // 
v_accvgpr_write_b32 acc205, v8                     // 
v_accvgpr_read_b32 v5, acc29                       // glvw 8 mb 0 tt1 53 r 0
v_accvgpr_read_b32 v6, acc93                       // glvw 8 mb 0 tt1 53 r 0
v_accvgpr_read_b32 v7, acc157                      // glvw 8 mb 0 tt1 53 r 0
v_accvgpr_read_b32 v8, acc221                      // glvw 8 mb 0 tt1 53 r 0
s_nop 1                                            // v_accvgpr read vgpr after write vgpr: 2 wait states
ds_bpermute_b32 v5, v0, v5, offset:8               // permute edge values
ds_bpermute_b32 v6, v0, v6, offset:8               // permute edge values
ds_bpermute_b32 v7, v0, v7, offset:8               // permute edge values
ds_bpermute_b32 v8, v0, v8, offset:8               // permute edge values
s_waitcnt 0                                        // wait for swizzle operation
v_accvgpr_write_b32 acc29, v5                      // 
v_accvgpr_write_b32 acc93, v6                      // 
v_accvgpr_write_b32 acc157, v7                     // 
v_accvgpr_write_b32 acc221, v8                     // 
v_accvgpr_read_b32 v5, acc45                       // glvw 8 mb 0 tt1 54 r 0
v_accvgpr_read_b32 v6, acc109                      // glvw 8 mb 0 tt1 54 r 0
v_accvgpr_read_b32 v7, acc173                      // glvw 8 mb 0 tt1 54 r 0
v_accvgpr_read_b32 v8, acc237                      // glvw 8 mb 0 tt1 54 r 0
s_nop 1                                            // v_accvgpr read vgpr after write vgpr: 2 wait states
ds_bpermute_b32 v5, v0, v5, offset:8               // permute edge values
ds_bpermute_b32 v6, v0, v6, offset:8               // permute edge values
	;; [unrolled: 1-line block ×4, first 2 shown]
s_waitcnt 0                                        // wait for swizzle operation
v_accvgpr_write_b32 acc45, v5                      // 
v_accvgpr_write_b32 acc109, v6                     // 
v_accvgpr_write_b32 acc173, v7                     // 
v_accvgpr_write_b32 acc237, v8                     // 
v_accvgpr_read_b32 v5, acc61                       // glvw 8 mb 0 tt1 55 r 0
v_accvgpr_read_b32 v6, acc125                      // glvw 8 mb 0 tt1 55 r 0
v_accvgpr_read_b32 v7, acc189                      // glvw 8 mb 0 tt1 55 r 0
v_accvgpr_read_b32 v8, acc253                      // glvw 8 mb 0 tt1 55 r 0
s_nop 1                                            // v_accvgpr read vgpr after write vgpr: 2 wait states
ds_bpermute_b32 v5, v0, v5, offset:8               // permute edge values
ds_bpermute_b32 v6, v0, v6, offset:8               // permute edge values
	;; [unrolled: 1-line block ×4, first 2 shown]
s_waitcnt 0                                        // wait for swizzle operation
v_accvgpr_write_b32 acc61, v5                      // 
v_accvgpr_write_b32 acc125, v6                     // 
v_accvgpr_write_b32 acc189, v7                     // 
v_accvgpr_write_b32 acc253, v8                     // 
v_accvgpr_read_b32 v5, acc14                       // glvw 8 mb 0 tt1 56 r 0
v_accvgpr_read_b32 v6, acc78                       // glvw 8 mb 0 tt1 56 r 0
v_accvgpr_read_b32 v7, acc142                      // glvw 8 mb 0 tt1 56 r 0
v_accvgpr_read_b32 v8, acc206                      // glvw 8 mb 0 tt1 56 r 0
s_nop 1                                            // v_accvgpr read vgpr after write vgpr: 2 wait states
ds_bpermute_b32 v5, v0, v5, offset:8               // permute edge values
ds_bpermute_b32 v6, v0, v6, offset:8               // permute edge values
	;; [unrolled: 1-line block ×4, first 2 shown]
s_waitcnt 0                                        // wait for swizzle operation
v_accvgpr_write_b32 acc14, v5                      // 
v_accvgpr_write_b32 acc78, v6                      // 
v_accvgpr_write_b32 acc142, v7                     // 
v_accvgpr_write_b32 acc206, v8                     // 
v_accvgpr_read_b32 v5, acc30                       // glvw 8 mb 0 tt1 57 r 0
v_accvgpr_read_b32 v6, acc94                       // glvw 8 mb 0 tt1 57 r 0
v_accvgpr_read_b32 v7, acc158                      // glvw 8 mb 0 tt1 57 r 0
v_accvgpr_read_b32 v8, acc222                      // glvw 8 mb 0 tt1 57 r 0
s_nop 1                                            // v_accvgpr read vgpr after write vgpr: 2 wait states
ds_bpermute_b32 v5, v0, v5, offset:8               // permute edge values
ds_bpermute_b32 v6, v0, v6, offset:8               // permute edge values
	;; [unrolled: 1-line block ×4, first 2 shown]
s_waitcnt 0                                        // wait for swizzle operation
v_accvgpr_write_b32 acc30, v5                      // 
v_accvgpr_write_b32 acc94, v6                      // 
v_accvgpr_write_b32 acc158, v7                     // 
v_accvgpr_write_b32 acc222, v8                     // 
v_accvgpr_read_b32 v5, acc46                       // glvw 8 mb 0 tt1 58 r 0
v_accvgpr_read_b32 v6, acc110                      // glvw 8 mb 0 tt1 58 r 0
v_accvgpr_read_b32 v7, acc174                      // glvw 8 mb 0 tt1 58 r 0
v_accvgpr_read_b32 v8, acc238                      // glvw 8 mb 0 tt1 58 r 0
s_nop 1                                            // v_accvgpr read vgpr after write vgpr: 2 wait states
ds_bpermute_b32 v5, v0, v5, offset:8               // permute edge values
ds_bpermute_b32 v6, v0, v6, offset:8               // permute edge values
	;; [unrolled: 1-line block ×4, first 2 shown]
s_waitcnt 0                                        // wait for swizzle operation
v_accvgpr_write_b32 acc46, v5                      // 
v_accvgpr_write_b32 acc110, v6                     // 
v_accvgpr_write_b32 acc174, v7                     // 
v_accvgpr_write_b32 acc238, v8                     // 
v_accvgpr_read_b32 v5, acc62                       // glvw 8 mb 0 tt1 59 r 0
v_accvgpr_read_b32 v6, acc126                      // glvw 8 mb 0 tt1 59 r 0
v_accvgpr_read_b32 v7, acc190                      // glvw 8 mb 0 tt1 59 r 0
v_accvgpr_read_b32 v8, acc254                      // glvw 8 mb 0 tt1 59 r 0
s_nop 1                                            // v_accvgpr read vgpr after write vgpr: 2 wait states
ds_bpermute_b32 v5, v0, v5, offset:8               // permute edge values
ds_bpermute_b32 v6, v0, v6, offset:8               // permute edge values
	;; [unrolled: 1-line block ×4, first 2 shown]
s_waitcnt 0                                        // wait for swizzle operation
v_accvgpr_write_b32 acc62, v5                      // 
v_accvgpr_write_b32 acc126, v6                     // 
v_accvgpr_write_b32 acc190, v7                     // 
v_accvgpr_write_b32 acc254, v8                     // 
v_accvgpr_read_b32 v5, acc15                       // glvw 8 mb 0 tt1 60 r 0
v_accvgpr_read_b32 v6, acc79                       // glvw 8 mb 0 tt1 60 r 0
v_accvgpr_read_b32 v7, acc143                      // glvw 8 mb 0 tt1 60 r 0
v_accvgpr_read_b32 v8, acc207                      // glvw 8 mb 0 tt1 60 r 0
s_nop 1                                            // v_accvgpr read vgpr after write vgpr: 2 wait states
ds_bpermute_b32 v5, v0, v5, offset:8               // permute edge values
ds_bpermute_b32 v6, v0, v6, offset:8               // permute edge values
ds_bpermute_b32 v7, v0, v7, offset:8               // permute edge values
ds_bpermute_b32 v8, v0, v8, offset:8               // permute edge values
s_waitcnt 0                                        // wait for swizzle operation
v_accvgpr_write_b32 acc15, v5                      // 
v_accvgpr_write_b32 acc79, v6                      // 
v_accvgpr_write_b32 acc143, v7                     // 
v_accvgpr_write_b32 acc207, v8                     // 
v_accvgpr_read_b32 v5, acc31                       // glvw 8 mb 0 tt1 61 r 0
v_accvgpr_read_b32 v6, acc95                       // glvw 8 mb 0 tt1 61 r 0
v_accvgpr_read_b32 v7, acc159                      // glvw 8 mb 0 tt1 61 r 0
v_accvgpr_read_b32 v8, acc223                      // glvw 8 mb 0 tt1 61 r 0
s_nop 1                                            // v_accvgpr read vgpr after write vgpr: 2 wait states
ds_bpermute_b32 v5, v0, v5, offset:8               // permute edge values
ds_bpermute_b32 v6, v0, v6, offset:8               // permute edge values
	;; [unrolled: 1-line block ×4, first 2 shown]
s_waitcnt 0                                        // wait for swizzle operation
v_accvgpr_write_b32 acc31, v5                      // 
v_accvgpr_write_b32 acc95, v6                      // 
v_accvgpr_write_b32 acc159, v7                     // 
v_accvgpr_write_b32 acc223, v8                     // 
v_accvgpr_read_b32 v5, acc47                       // glvw 8 mb 0 tt1 62 r 0
v_accvgpr_read_b32 v6, acc111                      // glvw 8 mb 0 tt1 62 r 0
v_accvgpr_read_b32 v7, acc175                      // glvw 8 mb 0 tt1 62 r 0
v_accvgpr_read_b32 v8, acc239                      // glvw 8 mb 0 tt1 62 r 0
s_nop 1                                            // v_accvgpr read vgpr after write vgpr: 2 wait states
ds_bpermute_b32 v5, v0, v5, offset:8               // permute edge values
ds_bpermute_b32 v6, v0, v6, offset:8               // permute edge values
	;; [unrolled: 1-line block ×4, first 2 shown]
s_waitcnt 0                                        // wait for swizzle operation
v_accvgpr_write_b32 acc47, v5                      // 
v_accvgpr_write_b32 acc111, v6                     // 
v_accvgpr_write_b32 acc175, v7                     // 
v_accvgpr_write_b32 acc239, v8                     // 
v_accvgpr_read_b32 v5, acc63                       // glvw 8 mb 0 tt1 63 r 0
v_accvgpr_read_b32 v6, acc127                      // glvw 8 mb 0 tt1 63 r 0
v_accvgpr_read_b32 v7, acc191                      // glvw 8 mb 0 tt1 63 r 0
v_accvgpr_read_b32 v8, acc255                      // glvw 8 mb 0 tt1 63 r 0
s_nop 1                                            // v_accvgpr read vgpr after write vgpr: 2 wait states
ds_bpermute_b32 v5, v0, v5, offset:8               // permute edge values
ds_bpermute_b32 v6, v0, v6, offset:8               // permute edge values
	;; [unrolled: 1-line block ×4, first 2 shown]
s_waitcnt 0                                        // wait for swizzle operation
v_accvgpr_write_b32 acc63, v5                      // 
v_accvgpr_write_b32 acc127, v6                     // 
v_accvgpr_write_b32 acc191, v7                     // 
v_accvgpr_write_b32 acc255, v8                     // 
s_mov_b64 s[42:43], 0xFFFFFFFFFFFFFFFF             // to restore all threads active
s_or_saveexec_b64 vcc, s[42:43]                    // all threads active
s_branch label_0222                                // done shifting


/******************************************/
/* shift d1 r=9 mb=0 vw0                  */
/******************************************/
label_0203: // r9 mb0 vw0 
s_mov_b32 s42, 0                                   // 
_v_cmpx_eq_u32 s[42:43], v4, s42                   // is thread in edge glvw region
v_and_b32 v0, 63, v[vgprSerial]                    // permute register between threads
v_lshlrev_b32 v0, 2, v0                            // permute register between threads
v_accvgpr_read_b32 v5, acc192                      // glvw 9 mb 0 tt1 0 r 0
v_accvgpr_read_b32 v6, acc0                        // glvw 9 mb 0 tt1 0 r 0
v_accvgpr_read_b32 v7, acc64                       // glvw 9 mb 0 tt1 0 r 0
v_accvgpr_read_b32 v8, acc128                      // glvw 9 mb 0 tt1 0 r 0
s_nop 1                                            // v_accvgpr read vgpr after write vgpr: 2 wait states
ds_bpermute_b32 v5, v0, v5, offset:4               // permute edge values
ds_bpermute_b32 v6, v0, v6, offset:8               // permute edge values
	;; [unrolled: 1-line block ×4, first 2 shown]
s_waitcnt 0                                        // wait for swizzle operation
v_accvgpr_write_b32 acc0, v5                       // 
v_accvgpr_write_b32 acc64, v6                      // 
v_accvgpr_write_b32 acc128, v7                     // 
v_accvgpr_write_b32 acc192, v8                     // 
v_accvgpr_read_b32 v5, acc208                      // glvw 9 mb 0 tt1 1 r 0
v_accvgpr_read_b32 v6, acc16                       // glvw 9 mb 0 tt1 1 r 0
v_accvgpr_read_b32 v7, acc80                       // glvw 9 mb 0 tt1 1 r 0
v_accvgpr_read_b32 v8, acc144                      // glvw 9 mb 0 tt1 1 r 0
s_nop 1                                            // v_accvgpr read vgpr after write vgpr: 2 wait states
ds_bpermute_b32 v5, v0, v5, offset:4               // permute edge values
ds_bpermute_b32 v6, v0, v6, offset:8               // permute edge values
	;; [unrolled: 1-line block ×4, first 2 shown]
s_waitcnt 0                                        // wait for swizzle operation
v_accvgpr_write_b32 acc16, v5                      // 
v_accvgpr_write_b32 acc80, v6                      // 
v_accvgpr_write_b32 acc144, v7                     // 
v_accvgpr_write_b32 acc208, v8                     // 
v_accvgpr_read_b32 v5, acc224                      // glvw 9 mb 0 tt1 2 r 0
v_accvgpr_read_b32 v6, acc32                       // glvw 9 mb 0 tt1 2 r 0
v_accvgpr_read_b32 v7, acc96                       // glvw 9 mb 0 tt1 2 r 0
v_accvgpr_read_b32 v8, acc160                      // glvw 9 mb 0 tt1 2 r 0
s_nop 1                                            // v_accvgpr read vgpr after write vgpr: 2 wait states
ds_bpermute_b32 v5, v0, v5, offset:4               // permute edge values
ds_bpermute_b32 v6, v0, v6, offset:8               // permute edge values
	;; [unrolled: 1-line block ×4, first 2 shown]
s_waitcnt 0                                        // wait for swizzle operation
v_accvgpr_write_b32 acc32, v5                      // 
v_accvgpr_write_b32 acc96, v6                      // 
v_accvgpr_write_b32 acc160, v7                     // 
v_accvgpr_write_b32 acc224, v8                     // 
v_accvgpr_read_b32 v5, acc240                      // glvw 9 mb 0 tt1 3 r 0
v_accvgpr_read_b32 v6, acc48                       // glvw 9 mb 0 tt1 3 r 0
v_accvgpr_read_b32 v7, acc112                      // glvw 9 mb 0 tt1 3 r 0
v_accvgpr_read_b32 v8, acc176                      // glvw 9 mb 0 tt1 3 r 0
s_nop 1                                            // v_accvgpr read vgpr after write vgpr: 2 wait states
ds_bpermute_b32 v5, v0, v5, offset:4               // permute edge values
ds_bpermute_b32 v6, v0, v6, offset:8               // permute edge values
	;; [unrolled: 1-line block ×4, first 2 shown]
s_waitcnt 0                                        // wait for swizzle operation
v_accvgpr_write_b32 acc48, v5                      // 
v_accvgpr_write_b32 acc112, v6                     // 
v_accvgpr_write_b32 acc176, v7                     // 
v_accvgpr_write_b32 acc240, v8                     // 
v_accvgpr_read_b32 v5, acc193                      // glvw 9 mb 0 tt1 4 r 0
v_accvgpr_read_b32 v6, acc1                        // glvw 9 mb 0 tt1 4 r 0
v_accvgpr_read_b32 v7, acc65                       // glvw 9 mb 0 tt1 4 r 0
v_accvgpr_read_b32 v8, acc129                      // glvw 9 mb 0 tt1 4 r 0
s_nop 1                                            // v_accvgpr read vgpr after write vgpr: 2 wait states
ds_bpermute_b32 v5, v0, v5, offset:4               // permute edge values
ds_bpermute_b32 v6, v0, v6, offset:8               // permute edge values
	;; [unrolled: 1-line block ×4, first 2 shown]
s_waitcnt 0                                        // wait for swizzle operation
v_accvgpr_write_b32 acc1, v5                       // 
v_accvgpr_write_b32 acc65, v6                      // 
v_accvgpr_write_b32 acc129, v7                     // 
v_accvgpr_write_b32 acc193, v8                     // 
v_accvgpr_read_b32 v5, acc209                      // glvw 9 mb 0 tt1 5 r 0
v_accvgpr_read_b32 v6, acc17                       // glvw 9 mb 0 tt1 5 r 0
v_accvgpr_read_b32 v7, acc81                       // glvw 9 mb 0 tt1 5 r 0
v_accvgpr_read_b32 v8, acc145                      // glvw 9 mb 0 tt1 5 r 0
s_nop 1                                            // v_accvgpr read vgpr after write vgpr: 2 wait states
ds_bpermute_b32 v5, v0, v5, offset:4               // permute edge values
ds_bpermute_b32 v6, v0, v6, offset:8               // permute edge values
	;; [unrolled: 1-line block ×4, first 2 shown]
s_waitcnt 0                                        // wait for swizzle operation
v_accvgpr_write_b32 acc17, v5                      // 
v_accvgpr_write_b32 acc81, v6                      // 
v_accvgpr_write_b32 acc145, v7                     // 
v_accvgpr_write_b32 acc209, v8                     // 
v_accvgpr_read_b32 v5, acc225                      // glvw 9 mb 0 tt1 6 r 0
v_accvgpr_read_b32 v6, acc33                       // glvw 9 mb 0 tt1 6 r 0
v_accvgpr_read_b32 v7, acc97                       // glvw 9 mb 0 tt1 6 r 0
v_accvgpr_read_b32 v8, acc161                      // glvw 9 mb 0 tt1 6 r 0
s_nop 1                                            // v_accvgpr read vgpr after write vgpr: 2 wait states
ds_bpermute_b32 v5, v0, v5, offset:4               // permute edge values
ds_bpermute_b32 v6, v0, v6, offset:8               // permute edge values
ds_bpermute_b32 v7, v0, v7, offset:8               // permute edge values
ds_bpermute_b32 v8, v0, v8, offset:8               // permute edge values
s_waitcnt 0                                        // wait for swizzle operation
v_accvgpr_write_b32 acc33, v5                      // 
v_accvgpr_write_b32 acc97, v6                      // 
v_accvgpr_write_b32 acc161, v7                     // 
v_accvgpr_write_b32 acc225, v8                     // 
v_accvgpr_read_b32 v5, acc241                      // glvw 9 mb 0 tt1 7 r 0
v_accvgpr_read_b32 v6, acc49                       // glvw 9 mb 0 tt1 7 r 0
v_accvgpr_read_b32 v7, acc113                      // glvw 9 mb 0 tt1 7 r 0
v_accvgpr_read_b32 v8, acc177                      // glvw 9 mb 0 tt1 7 r 0
s_nop 1                                            // v_accvgpr read vgpr after write vgpr: 2 wait states
ds_bpermute_b32 v5, v0, v5, offset:4               // permute edge values
ds_bpermute_b32 v6, v0, v6, offset:8               // permute edge values
	;; [unrolled: 1-line block ×4, first 2 shown]
s_waitcnt 0                                        // wait for swizzle operation
v_accvgpr_write_b32 acc49, v5                      // 
v_accvgpr_write_b32 acc113, v6                     // 
v_accvgpr_write_b32 acc177, v7                     // 
v_accvgpr_write_b32 acc241, v8                     // 
v_accvgpr_read_b32 v5, acc194                      // glvw 9 mb 0 tt1 8 r 0
v_accvgpr_read_b32 v6, acc2                        // glvw 9 mb 0 tt1 8 r 0
v_accvgpr_read_b32 v7, acc66                       // glvw 9 mb 0 tt1 8 r 0
v_accvgpr_read_b32 v8, acc130                      // glvw 9 mb 0 tt1 8 r 0
s_nop 1                                            // v_accvgpr read vgpr after write vgpr: 2 wait states
ds_bpermute_b32 v5, v0, v5, offset:4               // permute edge values
ds_bpermute_b32 v6, v0, v6, offset:8               // permute edge values
ds_bpermute_b32 v7, v0, v7, offset:8               // permute edge values
ds_bpermute_b32 v8, v0, v8, offset:8               // permute edge values
s_waitcnt 0                                        // wait for swizzle operation
v_accvgpr_write_b32 acc2, v5                       // 
v_accvgpr_write_b32 acc66, v6                      // 
v_accvgpr_write_b32 acc130, v7                     // 
v_accvgpr_write_b32 acc194, v8                     // 
v_accvgpr_read_b32 v5, acc210                      // glvw 9 mb 0 tt1 9 r 0
v_accvgpr_read_b32 v6, acc18                       // glvw 9 mb 0 tt1 9 r 0
v_accvgpr_read_b32 v7, acc82                       // glvw 9 mb 0 tt1 9 r 0
v_accvgpr_read_b32 v8, acc146                      // glvw 9 mb 0 tt1 9 r 0
s_nop 1                                            // v_accvgpr read vgpr after write vgpr: 2 wait states
ds_bpermute_b32 v5, v0, v5, offset:4               // permute edge values
ds_bpermute_b32 v6, v0, v6, offset:8               // permute edge values
	;; [unrolled: 1-line block ×4, first 2 shown]
s_waitcnt 0                                        // wait for swizzle operation
v_accvgpr_write_b32 acc18, v5                      // 
v_accvgpr_write_b32 acc82, v6                      // 
v_accvgpr_write_b32 acc146, v7                     // 
v_accvgpr_write_b32 acc210, v8                     // 
v_accvgpr_read_b32 v5, acc226                      // glvw 9 mb 0 tt1 10 r 0
v_accvgpr_read_b32 v6, acc34                       // glvw 9 mb 0 tt1 10 r 0
v_accvgpr_read_b32 v7, acc98                       // glvw 9 mb 0 tt1 10 r 0
v_accvgpr_read_b32 v8, acc162                      // glvw 9 mb 0 tt1 10 r 0
s_nop 1                                            // v_accvgpr read vgpr after write vgpr: 2 wait states
ds_bpermute_b32 v5, v0, v5, offset:4               // permute edge values
ds_bpermute_b32 v6, v0, v6, offset:8               // permute edge values
	;; [unrolled: 1-line block ×4, first 2 shown]
s_waitcnt 0                                        // wait for swizzle operation
v_accvgpr_write_b32 acc34, v5                      // 
v_accvgpr_write_b32 acc98, v6                      // 
v_accvgpr_write_b32 acc162, v7                     // 
v_accvgpr_write_b32 acc226, v8                     // 
v_accvgpr_read_b32 v5, acc242                      // glvw 9 mb 0 tt1 11 r 0
v_accvgpr_read_b32 v6, acc50                       // glvw 9 mb 0 tt1 11 r 0
v_accvgpr_read_b32 v7, acc114                      // glvw 9 mb 0 tt1 11 r 0
v_accvgpr_read_b32 v8, acc178                      // glvw 9 mb 0 tt1 11 r 0
s_nop 1                                            // v_accvgpr read vgpr after write vgpr: 2 wait states
ds_bpermute_b32 v5, v0, v5, offset:4               // permute edge values
ds_bpermute_b32 v6, v0, v6, offset:8               // permute edge values
ds_bpermute_b32 v7, v0, v7, offset:8               // permute edge values
ds_bpermute_b32 v8, v0, v8, offset:8               // permute edge values
s_waitcnt 0                                        // wait for swizzle operation
v_accvgpr_write_b32 acc50, v5                      // 
v_accvgpr_write_b32 acc114, v6                     // 
v_accvgpr_write_b32 acc178, v7                     // 
v_accvgpr_write_b32 acc242, v8                     // 
v_accvgpr_read_b32 v5, acc195                      // glvw 9 mb 0 tt1 12 r 0
v_accvgpr_read_b32 v6, acc3                        // glvw 9 mb 0 tt1 12 r 0
v_accvgpr_read_b32 v7, acc67                       // glvw 9 mb 0 tt1 12 r 0
v_accvgpr_read_b32 v8, acc131                      // glvw 9 mb 0 tt1 12 r 0
s_nop 1                                            // v_accvgpr read vgpr after write vgpr: 2 wait states
ds_bpermute_b32 v5, v0, v5, offset:4               // permute edge values
ds_bpermute_b32 v6, v0, v6, offset:8               // permute edge values
	;; [unrolled: 1-line block ×4, first 2 shown]
s_waitcnt 0                                        // wait for swizzle operation
v_accvgpr_write_b32 acc3, v5                       // 
v_accvgpr_write_b32 acc67, v6                      // 
v_accvgpr_write_b32 acc131, v7                     // 
v_accvgpr_write_b32 acc195, v8                     // 
v_accvgpr_read_b32 v5, acc211                      // glvw 9 mb 0 tt1 13 r 0
v_accvgpr_read_b32 v6, acc19                       // glvw 9 mb 0 tt1 13 r 0
v_accvgpr_read_b32 v7, acc83                       // glvw 9 mb 0 tt1 13 r 0
v_accvgpr_read_b32 v8, acc147                      // glvw 9 mb 0 tt1 13 r 0
s_nop 1                                            // v_accvgpr read vgpr after write vgpr: 2 wait states
ds_bpermute_b32 v5, v0, v5, offset:4               // permute edge values
ds_bpermute_b32 v6, v0, v6, offset:8               // permute edge values
	;; [unrolled: 1-line block ×4, first 2 shown]
s_waitcnt 0                                        // wait for swizzle operation
v_accvgpr_write_b32 acc19, v5                      // 
v_accvgpr_write_b32 acc83, v6                      // 
v_accvgpr_write_b32 acc147, v7                     // 
v_accvgpr_write_b32 acc211, v8                     // 
v_accvgpr_read_b32 v5, acc227                      // glvw 9 mb 0 tt1 14 r 0
v_accvgpr_read_b32 v6, acc35                       // glvw 9 mb 0 tt1 14 r 0
v_accvgpr_read_b32 v7, acc99                       // glvw 9 mb 0 tt1 14 r 0
v_accvgpr_read_b32 v8, acc163                      // glvw 9 mb 0 tt1 14 r 0
s_nop 1                                            // v_accvgpr read vgpr after write vgpr: 2 wait states
ds_bpermute_b32 v5, v0, v5, offset:4               // permute edge values
ds_bpermute_b32 v6, v0, v6, offset:8               // permute edge values
	;; [unrolled: 1-line block ×4, first 2 shown]
s_waitcnt 0                                        // wait for swizzle operation
v_accvgpr_write_b32 acc35, v5                      // 
v_accvgpr_write_b32 acc99, v6                      // 
v_accvgpr_write_b32 acc163, v7                     // 
v_accvgpr_write_b32 acc227, v8                     // 
v_accvgpr_read_b32 v5, acc243                      // glvw 9 mb 0 tt1 15 r 0
v_accvgpr_read_b32 v6, acc51                       // glvw 9 mb 0 tt1 15 r 0
v_accvgpr_read_b32 v7, acc115                      // glvw 9 mb 0 tt1 15 r 0
v_accvgpr_read_b32 v8, acc179                      // glvw 9 mb 0 tt1 15 r 0
s_nop 1                                            // v_accvgpr read vgpr after write vgpr: 2 wait states
ds_bpermute_b32 v5, v0, v5, offset:4               // permute edge values
ds_bpermute_b32 v6, v0, v6, offset:8               // permute edge values
	;; [unrolled: 1-line block ×4, first 2 shown]
s_waitcnt 0                                        // wait for swizzle operation
v_accvgpr_write_b32 acc51, v5                      // 
v_accvgpr_write_b32 acc115, v6                     // 
v_accvgpr_write_b32 acc179, v7                     // 
v_accvgpr_write_b32 acc243, v8                     // 
v_accvgpr_read_b32 v5, acc196                      // glvw 9 mb 0 tt1 16 r 0
v_accvgpr_read_b32 v6, acc4                        // glvw 9 mb 0 tt1 16 r 0
v_accvgpr_read_b32 v7, acc68                       // glvw 9 mb 0 tt1 16 r 0
v_accvgpr_read_b32 v8, acc132                      // glvw 9 mb 0 tt1 16 r 0
s_nop 1                                            // v_accvgpr read vgpr after write vgpr: 2 wait states
ds_bpermute_b32 v5, v0, v5, offset:4               // permute edge values
ds_bpermute_b32 v6, v0, v6, offset:8               // permute edge values
	;; [unrolled: 1-line block ×4, first 2 shown]
s_waitcnt 0                                        // wait for swizzle operation
v_accvgpr_write_b32 acc4, v5                       // 
v_accvgpr_write_b32 acc68, v6                      // 
v_accvgpr_write_b32 acc132, v7                     // 
v_accvgpr_write_b32 acc196, v8                     // 
v_accvgpr_read_b32 v5, acc212                      // glvw 9 mb 0 tt1 17 r 0
v_accvgpr_read_b32 v6, acc20                       // glvw 9 mb 0 tt1 17 r 0
v_accvgpr_read_b32 v7, acc84                       // glvw 9 mb 0 tt1 17 r 0
v_accvgpr_read_b32 v8, acc148                      // glvw 9 mb 0 tt1 17 r 0
s_nop 1                                            // v_accvgpr read vgpr after write vgpr: 2 wait states
ds_bpermute_b32 v5, v0, v5, offset:4               // permute edge values
ds_bpermute_b32 v6, v0, v6, offset:8               // permute edge values
	;; [unrolled: 1-line block ×4, first 2 shown]
s_waitcnt 0                                        // wait for swizzle operation
v_accvgpr_write_b32 acc20, v5                      // 
v_accvgpr_write_b32 acc84, v6                      // 
v_accvgpr_write_b32 acc148, v7                     // 
v_accvgpr_write_b32 acc212, v8                     // 
v_accvgpr_read_b32 v5, acc228                      // glvw 9 mb 0 tt1 18 r 0
v_accvgpr_read_b32 v6, acc36                       // glvw 9 mb 0 tt1 18 r 0
v_accvgpr_read_b32 v7, acc100                      // glvw 9 mb 0 tt1 18 r 0
v_accvgpr_read_b32 v8, acc164                      // glvw 9 mb 0 tt1 18 r 0
s_nop 1                                            // v_accvgpr read vgpr after write vgpr: 2 wait states
ds_bpermute_b32 v5, v0, v5, offset:4               // permute edge values
ds_bpermute_b32 v6, v0, v6, offset:8               // permute edge values
	;; [unrolled: 1-line block ×4, first 2 shown]
s_waitcnt 0                                        // wait for swizzle operation
v_accvgpr_write_b32 acc36, v5                      // 
v_accvgpr_write_b32 acc100, v6                     // 
v_accvgpr_write_b32 acc164, v7                     // 
v_accvgpr_write_b32 acc228, v8                     // 
v_accvgpr_read_b32 v5, acc244                      // glvw 9 mb 0 tt1 19 r 0
v_accvgpr_read_b32 v6, acc52                       // glvw 9 mb 0 tt1 19 r 0
v_accvgpr_read_b32 v7, acc116                      // glvw 9 mb 0 tt1 19 r 0
v_accvgpr_read_b32 v8, acc180                      // glvw 9 mb 0 tt1 19 r 0
s_nop 1                                            // v_accvgpr read vgpr after write vgpr: 2 wait states
ds_bpermute_b32 v5, v0, v5, offset:4               // permute edge values
ds_bpermute_b32 v6, v0, v6, offset:8               // permute edge values
	;; [unrolled: 1-line block ×4, first 2 shown]
s_waitcnt 0                                        // wait for swizzle operation
v_accvgpr_write_b32 acc52, v5                      // 
v_accvgpr_write_b32 acc116, v6                     // 
v_accvgpr_write_b32 acc180, v7                     // 
v_accvgpr_write_b32 acc244, v8                     // 
v_accvgpr_read_b32 v5, acc197                      // glvw 9 mb 0 tt1 20 r 0
v_accvgpr_read_b32 v6, acc5                        // glvw 9 mb 0 tt1 20 r 0
v_accvgpr_read_b32 v7, acc69                       // glvw 9 mb 0 tt1 20 r 0
v_accvgpr_read_b32 v8, acc133                      // glvw 9 mb 0 tt1 20 r 0
s_nop 1                                            // v_accvgpr read vgpr after write vgpr: 2 wait states
ds_bpermute_b32 v5, v0, v5, offset:4               // permute edge values
ds_bpermute_b32 v6, v0, v6, offset:8               // permute edge values
	;; [unrolled: 1-line block ×4, first 2 shown]
s_waitcnt 0                                        // wait for swizzle operation
v_accvgpr_write_b32 acc5, v5                       // 
v_accvgpr_write_b32 acc69, v6                      // 
v_accvgpr_write_b32 acc133, v7                     // 
v_accvgpr_write_b32 acc197, v8                     // 
v_accvgpr_read_b32 v5, acc213                      // glvw 9 mb 0 tt1 21 r 0
v_accvgpr_read_b32 v6, acc21                       // glvw 9 mb 0 tt1 21 r 0
v_accvgpr_read_b32 v7, acc85                       // glvw 9 mb 0 tt1 21 r 0
v_accvgpr_read_b32 v8, acc149                      // glvw 9 mb 0 tt1 21 r 0
s_nop 1                                            // v_accvgpr read vgpr after write vgpr: 2 wait states
ds_bpermute_b32 v5, v0, v5, offset:4               // permute edge values
ds_bpermute_b32 v6, v0, v6, offset:8               // permute edge values
	;; [unrolled: 1-line block ×4, first 2 shown]
s_waitcnt 0                                        // wait for swizzle operation
v_accvgpr_write_b32 acc21, v5                      // 
v_accvgpr_write_b32 acc85, v6                      // 
v_accvgpr_write_b32 acc149, v7                     // 
v_accvgpr_write_b32 acc213, v8                     // 
v_accvgpr_read_b32 v5, acc229                      // glvw 9 mb 0 tt1 22 r 0
v_accvgpr_read_b32 v6, acc37                       // glvw 9 mb 0 tt1 22 r 0
v_accvgpr_read_b32 v7, acc101                      // glvw 9 mb 0 tt1 22 r 0
v_accvgpr_read_b32 v8, acc165                      // glvw 9 mb 0 tt1 22 r 0
s_nop 1                                            // v_accvgpr read vgpr after write vgpr: 2 wait states
ds_bpermute_b32 v5, v0, v5, offset:4               // permute edge values
ds_bpermute_b32 v6, v0, v6, offset:8               // permute edge values
	;; [unrolled: 1-line block ×4, first 2 shown]
s_waitcnt 0                                        // wait for swizzle operation
v_accvgpr_write_b32 acc37, v5                      // 
v_accvgpr_write_b32 acc101, v6                     // 
v_accvgpr_write_b32 acc165, v7                     // 
v_accvgpr_write_b32 acc229, v8                     // 
v_accvgpr_read_b32 v5, acc245                      // glvw 9 mb 0 tt1 23 r 0
v_accvgpr_read_b32 v6, acc53                       // glvw 9 mb 0 tt1 23 r 0
v_accvgpr_read_b32 v7, acc117                      // glvw 9 mb 0 tt1 23 r 0
v_accvgpr_read_b32 v8, acc181                      // glvw 9 mb 0 tt1 23 r 0
s_nop 1                                            // v_accvgpr read vgpr after write vgpr: 2 wait states
ds_bpermute_b32 v5, v0, v5, offset:4               // permute edge values
ds_bpermute_b32 v6, v0, v6, offset:8               // permute edge values
	;; [unrolled: 1-line block ×4, first 2 shown]
s_waitcnt 0                                        // wait for swizzle operation
v_accvgpr_write_b32 acc53, v5                      // 
v_accvgpr_write_b32 acc117, v6                     // 
v_accvgpr_write_b32 acc181, v7                     // 
v_accvgpr_write_b32 acc245, v8                     // 
v_accvgpr_read_b32 v5, acc198                      // glvw 9 mb 0 tt1 24 r 0
v_accvgpr_read_b32 v6, acc6                        // glvw 9 mb 0 tt1 24 r 0
v_accvgpr_read_b32 v7, acc70                       // glvw 9 mb 0 tt1 24 r 0
v_accvgpr_read_b32 v8, acc134                      // glvw 9 mb 0 tt1 24 r 0
s_nop 1                                            // v_accvgpr read vgpr after write vgpr: 2 wait states
ds_bpermute_b32 v5, v0, v5, offset:4               // permute edge values
ds_bpermute_b32 v6, v0, v6, offset:8               // permute edge values
	;; [unrolled: 1-line block ×4, first 2 shown]
s_waitcnt 0                                        // wait for swizzle operation
v_accvgpr_write_b32 acc6, v5                       // 
v_accvgpr_write_b32 acc70, v6                      // 
v_accvgpr_write_b32 acc134, v7                     // 
v_accvgpr_write_b32 acc198, v8                     // 
v_accvgpr_read_b32 v5, acc214                      // glvw 9 mb 0 tt1 25 r 0
v_accvgpr_read_b32 v6, acc22                       // glvw 9 mb 0 tt1 25 r 0
v_accvgpr_read_b32 v7, acc86                       // glvw 9 mb 0 tt1 25 r 0
v_accvgpr_read_b32 v8, acc150                      // glvw 9 mb 0 tt1 25 r 0
s_nop 1                                            // v_accvgpr read vgpr after write vgpr: 2 wait states
ds_bpermute_b32 v5, v0, v5, offset:4               // permute edge values
ds_bpermute_b32 v6, v0, v6, offset:8               // permute edge values
	;; [unrolled: 1-line block ×4, first 2 shown]
s_waitcnt 0                                        // wait for swizzle operation
v_accvgpr_write_b32 acc22, v5                      // 
v_accvgpr_write_b32 acc86, v6                      // 
v_accvgpr_write_b32 acc150, v7                     // 
v_accvgpr_write_b32 acc214, v8                     // 
v_accvgpr_read_b32 v5, acc230                      // glvw 9 mb 0 tt1 26 r 0
v_accvgpr_read_b32 v6, acc38                       // glvw 9 mb 0 tt1 26 r 0
v_accvgpr_read_b32 v7, acc102                      // glvw 9 mb 0 tt1 26 r 0
v_accvgpr_read_b32 v8, acc166                      // glvw 9 mb 0 tt1 26 r 0
s_nop 1                                            // v_accvgpr read vgpr after write vgpr: 2 wait states
ds_bpermute_b32 v5, v0, v5, offset:4               // permute edge values
ds_bpermute_b32 v6, v0, v6, offset:8               // permute edge values
	;; [unrolled: 1-line block ×4, first 2 shown]
s_waitcnt 0                                        // wait for swizzle operation
v_accvgpr_write_b32 acc38, v5                      // 
v_accvgpr_write_b32 acc102, v6                     // 
v_accvgpr_write_b32 acc166, v7                     // 
v_accvgpr_write_b32 acc230, v8                     // 
v_accvgpr_read_b32 v5, acc246                      // glvw 9 mb 0 tt1 27 r 0
v_accvgpr_read_b32 v6, acc54                       // glvw 9 mb 0 tt1 27 r 0
v_accvgpr_read_b32 v7, acc118                      // glvw 9 mb 0 tt1 27 r 0
v_accvgpr_read_b32 v8, acc182                      // glvw 9 mb 0 tt1 27 r 0
s_nop 1                                            // v_accvgpr read vgpr after write vgpr: 2 wait states
ds_bpermute_b32 v5, v0, v5, offset:4               // permute edge values
ds_bpermute_b32 v6, v0, v6, offset:8               // permute edge values
ds_bpermute_b32 v7, v0, v7, offset:8               // permute edge values
ds_bpermute_b32 v8, v0, v8, offset:8               // permute edge values
s_waitcnt 0                                        // wait for swizzle operation
v_accvgpr_write_b32 acc54, v5                      // 
v_accvgpr_write_b32 acc118, v6                     // 
v_accvgpr_write_b32 acc182, v7                     // 
v_accvgpr_write_b32 acc246, v8                     // 
v_accvgpr_read_b32 v5, acc199                      // glvw 9 mb 0 tt1 28 r 0
v_accvgpr_read_b32 v6, acc7                        // glvw 9 mb 0 tt1 28 r 0
v_accvgpr_read_b32 v7, acc71                       // glvw 9 mb 0 tt1 28 r 0
v_accvgpr_read_b32 v8, acc135                      // glvw 9 mb 0 tt1 28 r 0
s_nop 1                                            // v_accvgpr read vgpr after write vgpr: 2 wait states
ds_bpermute_b32 v5, v0, v5, offset:4               // permute edge values
ds_bpermute_b32 v6, v0, v6, offset:8               // permute edge values
	;; [unrolled: 1-line block ×4, first 2 shown]
s_waitcnt 0                                        // wait for swizzle operation
v_accvgpr_write_b32 acc7, v5                       // 
v_accvgpr_write_b32 acc71, v6                      // 
v_accvgpr_write_b32 acc135, v7                     // 
v_accvgpr_write_b32 acc199, v8                     // 
v_accvgpr_read_b32 v5, acc215                      // glvw 9 mb 0 tt1 29 r 0
v_accvgpr_read_b32 v6, acc23                       // glvw 9 mb 0 tt1 29 r 0
v_accvgpr_read_b32 v7, acc87                       // glvw 9 mb 0 tt1 29 r 0
v_accvgpr_read_b32 v8, acc151                      // glvw 9 mb 0 tt1 29 r 0
s_nop 1                                            // v_accvgpr read vgpr after write vgpr: 2 wait states
ds_bpermute_b32 v5, v0, v5, offset:4               // permute edge values
ds_bpermute_b32 v6, v0, v6, offset:8               // permute edge values
	;; [unrolled: 1-line block ×4, first 2 shown]
s_waitcnt 0                                        // wait for swizzle operation
v_accvgpr_write_b32 acc23, v5                      // 
v_accvgpr_write_b32 acc87, v6                      // 
v_accvgpr_write_b32 acc151, v7                     // 
v_accvgpr_write_b32 acc215, v8                     // 
v_accvgpr_read_b32 v5, acc231                      // glvw 9 mb 0 tt1 30 r 0
v_accvgpr_read_b32 v6, acc39                       // glvw 9 mb 0 tt1 30 r 0
v_accvgpr_read_b32 v7, acc103                      // glvw 9 mb 0 tt1 30 r 0
v_accvgpr_read_b32 v8, acc167                      // glvw 9 mb 0 tt1 30 r 0
s_nop 1                                            // v_accvgpr read vgpr after write vgpr: 2 wait states
ds_bpermute_b32 v5, v0, v5, offset:4               // permute edge values
ds_bpermute_b32 v6, v0, v6, offset:8               // permute edge values
	;; [unrolled: 1-line block ×4, first 2 shown]
s_waitcnt 0                                        // wait for swizzle operation
v_accvgpr_write_b32 acc39, v5                      // 
v_accvgpr_write_b32 acc103, v6                     // 
v_accvgpr_write_b32 acc167, v7                     // 
v_accvgpr_write_b32 acc231, v8                     // 
v_accvgpr_read_b32 v5, acc247                      // glvw 9 mb 0 tt1 31 r 0
v_accvgpr_read_b32 v6, acc55                       // glvw 9 mb 0 tt1 31 r 0
v_accvgpr_read_b32 v7, acc119                      // glvw 9 mb 0 tt1 31 r 0
v_accvgpr_read_b32 v8, acc183                      // glvw 9 mb 0 tt1 31 r 0
s_nop 1                                            // v_accvgpr read vgpr after write vgpr: 2 wait states
ds_bpermute_b32 v5, v0, v5, offset:4               // permute edge values
ds_bpermute_b32 v6, v0, v6, offset:8               // permute edge values
	;; [unrolled: 1-line block ×4, first 2 shown]
s_waitcnt 0                                        // wait for swizzle operation
v_accvgpr_write_b32 acc55, v5                      // 
v_accvgpr_write_b32 acc119, v6                     // 
v_accvgpr_write_b32 acc183, v7                     // 
v_accvgpr_write_b32 acc247, v8                     // 
v_accvgpr_read_b32 v5, acc200                      // glvw 9 mb 0 tt1 32 r 0
v_accvgpr_read_b32 v6, acc8                        // glvw 9 mb 0 tt1 32 r 0
v_accvgpr_read_b32 v7, acc72                       // glvw 9 mb 0 tt1 32 r 0
v_accvgpr_read_b32 v8, acc136                      // glvw 9 mb 0 tt1 32 r 0
s_nop 1                                            // v_accvgpr read vgpr after write vgpr: 2 wait states
ds_bpermute_b32 v5, v0, v5, offset:4               // permute edge values
ds_bpermute_b32 v6, v0, v6, offset:8               // permute edge values
	;; [unrolled: 1-line block ×4, first 2 shown]
s_waitcnt 0                                        // wait for swizzle operation
v_accvgpr_write_b32 acc8, v5                       // 
v_accvgpr_write_b32 acc72, v6                      // 
v_accvgpr_write_b32 acc136, v7                     // 
v_accvgpr_write_b32 acc200, v8                     // 
v_accvgpr_read_b32 v5, acc216                      // glvw 9 mb 0 tt1 33 r 0
v_accvgpr_read_b32 v6, acc24                       // glvw 9 mb 0 tt1 33 r 0
v_accvgpr_read_b32 v7, acc88                       // glvw 9 mb 0 tt1 33 r 0
v_accvgpr_read_b32 v8, acc152                      // glvw 9 mb 0 tt1 33 r 0
s_nop 1                                            // v_accvgpr read vgpr after write vgpr: 2 wait states
ds_bpermute_b32 v5, v0, v5, offset:4               // permute edge values
ds_bpermute_b32 v6, v0, v6, offset:8               // permute edge values
	;; [unrolled: 1-line block ×4, first 2 shown]
s_waitcnt 0                                        // wait for swizzle operation
v_accvgpr_write_b32 acc24, v5                      // 
v_accvgpr_write_b32 acc88, v6                      // 
v_accvgpr_write_b32 acc152, v7                     // 
v_accvgpr_write_b32 acc216, v8                     // 
v_accvgpr_read_b32 v5, acc232                      // glvw 9 mb 0 tt1 34 r 0
v_accvgpr_read_b32 v6, acc40                       // glvw 9 mb 0 tt1 34 r 0
v_accvgpr_read_b32 v7, acc104                      // glvw 9 mb 0 tt1 34 r 0
v_accvgpr_read_b32 v8, acc168                      // glvw 9 mb 0 tt1 34 r 0
s_nop 1                                            // v_accvgpr read vgpr after write vgpr: 2 wait states
ds_bpermute_b32 v5, v0, v5, offset:4               // permute edge values
ds_bpermute_b32 v6, v0, v6, offset:8               // permute edge values
	;; [unrolled: 1-line block ×4, first 2 shown]
s_waitcnt 0                                        // wait for swizzle operation
v_accvgpr_write_b32 acc40, v5                      // 
v_accvgpr_write_b32 acc104, v6                     // 
v_accvgpr_write_b32 acc168, v7                     // 
v_accvgpr_write_b32 acc232, v8                     // 
v_accvgpr_read_b32 v5, acc248                      // glvw 9 mb 0 tt1 35 r 0
v_accvgpr_read_b32 v6, acc56                       // glvw 9 mb 0 tt1 35 r 0
v_accvgpr_read_b32 v7, acc120                      // glvw 9 mb 0 tt1 35 r 0
v_accvgpr_read_b32 v8, acc184                      // glvw 9 mb 0 tt1 35 r 0
s_nop 1                                            // v_accvgpr read vgpr after write vgpr: 2 wait states
ds_bpermute_b32 v5, v0, v5, offset:4               // permute edge values
ds_bpermute_b32 v6, v0, v6, offset:8               // permute edge values
	;; [unrolled: 1-line block ×4, first 2 shown]
s_waitcnt 0                                        // wait for swizzle operation
v_accvgpr_write_b32 acc56, v5                      // 
v_accvgpr_write_b32 acc120, v6                     // 
v_accvgpr_write_b32 acc184, v7                     // 
v_accvgpr_write_b32 acc248, v8                     // 
v_accvgpr_read_b32 v5, acc201                      // glvw 9 mb 0 tt1 36 r 0
v_accvgpr_read_b32 v6, acc9                        // glvw 9 mb 0 tt1 36 r 0
v_accvgpr_read_b32 v7, acc73                       // glvw 9 mb 0 tt1 36 r 0
v_accvgpr_read_b32 v8, acc137                      // glvw 9 mb 0 tt1 36 r 0
s_nop 1                                            // v_accvgpr read vgpr after write vgpr: 2 wait states
ds_bpermute_b32 v5, v0, v5, offset:4               // permute edge values
ds_bpermute_b32 v6, v0, v6, offset:8               // permute edge values
	;; [unrolled: 1-line block ×4, first 2 shown]
s_waitcnt 0                                        // wait for swizzle operation
v_accvgpr_write_b32 acc9, v5                       // 
v_accvgpr_write_b32 acc73, v6                      // 
v_accvgpr_write_b32 acc137, v7                     // 
v_accvgpr_write_b32 acc201, v8                     // 
v_accvgpr_read_b32 v5, acc217                      // glvw 9 mb 0 tt1 37 r 0
v_accvgpr_read_b32 v6, acc25                       // glvw 9 mb 0 tt1 37 r 0
v_accvgpr_read_b32 v7, acc89                       // glvw 9 mb 0 tt1 37 r 0
v_accvgpr_read_b32 v8, acc153                      // glvw 9 mb 0 tt1 37 r 0
s_nop 1                                            // v_accvgpr read vgpr after write vgpr: 2 wait states
ds_bpermute_b32 v5, v0, v5, offset:4               // permute edge values
ds_bpermute_b32 v6, v0, v6, offset:8               // permute edge values
ds_bpermute_b32 v7, v0, v7, offset:8               // permute edge values
ds_bpermute_b32 v8, v0, v8, offset:8               // permute edge values
s_waitcnt 0                                        // wait for swizzle operation
v_accvgpr_write_b32 acc25, v5                      // 
v_accvgpr_write_b32 acc89, v6                      // 
v_accvgpr_write_b32 acc153, v7                     // 
v_accvgpr_write_b32 acc217, v8                     // 
v_accvgpr_read_b32 v5, acc233                      // glvw 9 mb 0 tt1 38 r 0
v_accvgpr_read_b32 v6, acc41                       // glvw 9 mb 0 tt1 38 r 0
v_accvgpr_read_b32 v7, acc105                      // glvw 9 mb 0 tt1 38 r 0
v_accvgpr_read_b32 v8, acc169                      // glvw 9 mb 0 tt1 38 r 0
s_nop 1                                            // v_accvgpr read vgpr after write vgpr: 2 wait states
ds_bpermute_b32 v5, v0, v5, offset:4               // permute edge values
ds_bpermute_b32 v6, v0, v6, offset:8               // permute edge values
	;; [unrolled: 1-line block ×4, first 2 shown]
s_waitcnt 0                                        // wait for swizzle operation
v_accvgpr_write_b32 acc41, v5                      // 
v_accvgpr_write_b32 acc105, v6                     // 
v_accvgpr_write_b32 acc169, v7                     // 
v_accvgpr_write_b32 acc233, v8                     // 
v_accvgpr_read_b32 v5, acc249                      // glvw 9 mb 0 tt1 39 r 0
v_accvgpr_read_b32 v6, acc57                       // glvw 9 mb 0 tt1 39 r 0
v_accvgpr_read_b32 v7, acc121                      // glvw 9 mb 0 tt1 39 r 0
v_accvgpr_read_b32 v8, acc185                      // glvw 9 mb 0 tt1 39 r 0
s_nop 1                                            // v_accvgpr read vgpr after write vgpr: 2 wait states
ds_bpermute_b32 v5, v0, v5, offset:4               // permute edge values
ds_bpermute_b32 v6, v0, v6, offset:8               // permute edge values
	;; [unrolled: 1-line block ×4, first 2 shown]
s_waitcnt 0                                        // wait for swizzle operation
v_accvgpr_write_b32 acc57, v5                      // 
v_accvgpr_write_b32 acc121, v6                     // 
v_accvgpr_write_b32 acc185, v7                     // 
v_accvgpr_write_b32 acc249, v8                     // 
v_accvgpr_read_b32 v5, acc202                      // glvw 9 mb 0 tt1 40 r 0
v_accvgpr_read_b32 v6, acc10                       // glvw 9 mb 0 tt1 40 r 0
v_accvgpr_read_b32 v7, acc74                       // glvw 9 mb 0 tt1 40 r 0
v_accvgpr_read_b32 v8, acc138                      // glvw 9 mb 0 tt1 40 r 0
s_nop 1                                            // v_accvgpr read vgpr after write vgpr: 2 wait states
ds_bpermute_b32 v5, v0, v5, offset:4               // permute edge values
ds_bpermute_b32 v6, v0, v6, offset:8               // permute edge values
	;; [unrolled: 1-line block ×4, first 2 shown]
s_waitcnt 0                                        // wait for swizzle operation
v_accvgpr_write_b32 acc10, v5                      // 
v_accvgpr_write_b32 acc74, v6                      // 
v_accvgpr_write_b32 acc138, v7                     // 
v_accvgpr_write_b32 acc202, v8                     // 
v_accvgpr_read_b32 v5, acc218                      // glvw 9 mb 0 tt1 41 r 0
v_accvgpr_read_b32 v6, acc26                       // glvw 9 mb 0 tt1 41 r 0
v_accvgpr_read_b32 v7, acc90                       // glvw 9 mb 0 tt1 41 r 0
v_accvgpr_read_b32 v8, acc154                      // glvw 9 mb 0 tt1 41 r 0
s_nop 1                                            // v_accvgpr read vgpr after write vgpr: 2 wait states
ds_bpermute_b32 v5, v0, v5, offset:4               // permute edge values
ds_bpermute_b32 v6, v0, v6, offset:8               // permute edge values
	;; [unrolled: 1-line block ×4, first 2 shown]
s_waitcnt 0                                        // wait for swizzle operation
v_accvgpr_write_b32 acc26, v5                      // 
v_accvgpr_write_b32 acc90, v6                      // 
v_accvgpr_write_b32 acc154, v7                     // 
v_accvgpr_write_b32 acc218, v8                     // 
v_accvgpr_read_b32 v5, acc234                      // glvw 9 mb 0 tt1 42 r 0
v_accvgpr_read_b32 v6, acc42                       // glvw 9 mb 0 tt1 42 r 0
v_accvgpr_read_b32 v7, acc106                      // glvw 9 mb 0 tt1 42 r 0
v_accvgpr_read_b32 v8, acc170                      // glvw 9 mb 0 tt1 42 r 0
s_nop 1                                            // v_accvgpr read vgpr after write vgpr: 2 wait states
ds_bpermute_b32 v5, v0, v5, offset:4               // permute edge values
ds_bpermute_b32 v6, v0, v6, offset:8               // permute edge values
	;; [unrolled: 1-line block ×4, first 2 shown]
s_waitcnt 0                                        // wait for swizzle operation
v_accvgpr_write_b32 acc42, v5                      // 
v_accvgpr_write_b32 acc106, v6                     // 
v_accvgpr_write_b32 acc170, v7                     // 
v_accvgpr_write_b32 acc234, v8                     // 
v_accvgpr_read_b32 v5, acc250                      // glvw 9 mb 0 tt1 43 r 0
v_accvgpr_read_b32 v6, acc58                       // glvw 9 mb 0 tt1 43 r 0
v_accvgpr_read_b32 v7, acc122                      // glvw 9 mb 0 tt1 43 r 0
v_accvgpr_read_b32 v8, acc186                      // glvw 9 mb 0 tt1 43 r 0
s_nop 1                                            // v_accvgpr read vgpr after write vgpr: 2 wait states
ds_bpermute_b32 v5, v0, v5, offset:4               // permute edge values
ds_bpermute_b32 v6, v0, v6, offset:8               // permute edge values
	;; [unrolled: 1-line block ×4, first 2 shown]
s_waitcnt 0                                        // wait for swizzle operation
v_accvgpr_write_b32 acc58, v5                      // 
v_accvgpr_write_b32 acc122, v6                     // 
v_accvgpr_write_b32 acc186, v7                     // 
v_accvgpr_write_b32 acc250, v8                     // 
v_accvgpr_read_b32 v5, acc203                      // glvw 9 mb 0 tt1 44 r 0
v_accvgpr_read_b32 v6, acc11                       // glvw 9 mb 0 tt1 44 r 0
v_accvgpr_read_b32 v7, acc75                       // glvw 9 mb 0 tt1 44 r 0
v_accvgpr_read_b32 v8, acc139                      // glvw 9 mb 0 tt1 44 r 0
s_nop 1                                            // v_accvgpr read vgpr after write vgpr: 2 wait states
ds_bpermute_b32 v5, v0, v5, offset:4               // permute edge values
ds_bpermute_b32 v6, v0, v6, offset:8               // permute edge values
	;; [unrolled: 1-line block ×4, first 2 shown]
s_waitcnt 0                                        // wait for swizzle operation
v_accvgpr_write_b32 acc11, v5                      // 
v_accvgpr_write_b32 acc75, v6                      // 
v_accvgpr_write_b32 acc139, v7                     // 
v_accvgpr_write_b32 acc203, v8                     // 
v_accvgpr_read_b32 v5, acc219                      // glvw 9 mb 0 tt1 45 r 0
v_accvgpr_read_b32 v6, acc27                       // glvw 9 mb 0 tt1 45 r 0
v_accvgpr_read_b32 v7, acc91                       // glvw 9 mb 0 tt1 45 r 0
v_accvgpr_read_b32 v8, acc155                      // glvw 9 mb 0 tt1 45 r 0
s_nop 1                                            // v_accvgpr read vgpr after write vgpr: 2 wait states
ds_bpermute_b32 v5, v0, v5, offset:4               // permute edge values
ds_bpermute_b32 v6, v0, v6, offset:8               // permute edge values
	;; [unrolled: 1-line block ×4, first 2 shown]
s_waitcnt 0                                        // wait for swizzle operation
v_accvgpr_write_b32 acc27, v5                      // 
v_accvgpr_write_b32 acc91, v6                      // 
v_accvgpr_write_b32 acc155, v7                     // 
v_accvgpr_write_b32 acc219, v8                     // 
v_accvgpr_read_b32 v5, acc235                      // glvw 9 mb 0 tt1 46 r 0
v_accvgpr_read_b32 v6, acc43                       // glvw 9 mb 0 tt1 46 r 0
v_accvgpr_read_b32 v7, acc107                      // glvw 9 mb 0 tt1 46 r 0
v_accvgpr_read_b32 v8, acc171                      // glvw 9 mb 0 tt1 46 r 0
s_nop 1                                            // v_accvgpr read vgpr after write vgpr: 2 wait states
ds_bpermute_b32 v5, v0, v5, offset:4               // permute edge values
ds_bpermute_b32 v6, v0, v6, offset:8               // permute edge values
	;; [unrolled: 1-line block ×4, first 2 shown]
s_waitcnt 0                                        // wait for swizzle operation
v_accvgpr_write_b32 acc43, v5                      // 
v_accvgpr_write_b32 acc107, v6                     // 
v_accvgpr_write_b32 acc171, v7                     // 
v_accvgpr_write_b32 acc235, v8                     // 
v_accvgpr_read_b32 v5, acc251                      // glvw 9 mb 0 tt1 47 r 0
v_accvgpr_read_b32 v6, acc59                       // glvw 9 mb 0 tt1 47 r 0
v_accvgpr_read_b32 v7, acc123                      // glvw 9 mb 0 tt1 47 r 0
v_accvgpr_read_b32 v8, acc187                      // glvw 9 mb 0 tt1 47 r 0
s_nop 1                                            // v_accvgpr read vgpr after write vgpr: 2 wait states
ds_bpermute_b32 v5, v0, v5, offset:4               // permute edge values
ds_bpermute_b32 v6, v0, v6, offset:8               // permute edge values
	;; [unrolled: 1-line block ×4, first 2 shown]
s_waitcnt 0                                        // wait for swizzle operation
v_accvgpr_write_b32 acc59, v5                      // 
v_accvgpr_write_b32 acc123, v6                     // 
v_accvgpr_write_b32 acc187, v7                     // 
v_accvgpr_write_b32 acc251, v8                     // 
v_accvgpr_read_b32 v5, acc204                      // glvw 9 mb 0 tt1 48 r 0
v_accvgpr_read_b32 v6, acc12                       // glvw 9 mb 0 tt1 48 r 0
v_accvgpr_read_b32 v7, acc76                       // glvw 9 mb 0 tt1 48 r 0
v_accvgpr_read_b32 v8, acc140                      // glvw 9 mb 0 tt1 48 r 0
s_nop 1                                            // v_accvgpr read vgpr after write vgpr: 2 wait states
ds_bpermute_b32 v5, v0, v5, offset:4               // permute edge values
ds_bpermute_b32 v6, v0, v6, offset:8               // permute edge values
ds_bpermute_b32 v7, v0, v7, offset:8               // permute edge values
ds_bpermute_b32 v8, v0, v8, offset:8               // permute edge values
s_waitcnt 0                                        // wait for swizzle operation
v_accvgpr_write_b32 acc12, v5                      // 
v_accvgpr_write_b32 acc76, v6                      // 
v_accvgpr_write_b32 acc140, v7                     // 
v_accvgpr_write_b32 acc204, v8                     // 
v_accvgpr_read_b32 v5, acc220                      // glvw 9 mb 0 tt1 49 r 0
v_accvgpr_read_b32 v6, acc28                       // glvw 9 mb 0 tt1 49 r 0
v_accvgpr_read_b32 v7, acc92                       // glvw 9 mb 0 tt1 49 r 0
v_accvgpr_read_b32 v8, acc156                      // glvw 9 mb 0 tt1 49 r 0
s_nop 1                                            // v_accvgpr read vgpr after write vgpr: 2 wait states
ds_bpermute_b32 v5, v0, v5, offset:4               // permute edge values
ds_bpermute_b32 v6, v0, v6, offset:8               // permute edge values
	;; [unrolled: 1-line block ×4, first 2 shown]
s_waitcnt 0                                        // wait for swizzle operation
v_accvgpr_write_b32 acc28, v5                      // 
v_accvgpr_write_b32 acc92, v6                      // 
v_accvgpr_write_b32 acc156, v7                     // 
v_accvgpr_write_b32 acc220, v8                     // 
v_accvgpr_read_b32 v5, acc236                      // glvw 9 mb 0 tt1 50 r 0
v_accvgpr_read_b32 v6, acc44                       // glvw 9 mb 0 tt1 50 r 0
v_accvgpr_read_b32 v7, acc108                      // glvw 9 mb 0 tt1 50 r 0
v_accvgpr_read_b32 v8, acc172                      // glvw 9 mb 0 tt1 50 r 0
s_nop 1                                            // v_accvgpr read vgpr after write vgpr: 2 wait states
ds_bpermute_b32 v5, v0, v5, offset:4               // permute edge values
ds_bpermute_b32 v6, v0, v6, offset:8               // permute edge values
	;; [unrolled: 1-line block ×4, first 2 shown]
s_waitcnt 0                                        // wait for swizzle operation
v_accvgpr_write_b32 acc44, v5                      // 
v_accvgpr_write_b32 acc108, v6                     // 
v_accvgpr_write_b32 acc172, v7                     // 
v_accvgpr_write_b32 acc236, v8                     // 
v_accvgpr_read_b32 v5, acc252                      // glvw 9 mb 0 tt1 51 r 0
v_accvgpr_read_b32 v6, acc60                       // glvw 9 mb 0 tt1 51 r 0
v_accvgpr_read_b32 v7, acc124                      // glvw 9 mb 0 tt1 51 r 0
v_accvgpr_read_b32 v8, acc188                      // glvw 9 mb 0 tt1 51 r 0
s_nop 1                                            // v_accvgpr read vgpr after write vgpr: 2 wait states
ds_bpermute_b32 v5, v0, v5, offset:4               // permute edge values
ds_bpermute_b32 v6, v0, v6, offset:8               // permute edge values
	;; [unrolled: 1-line block ×4, first 2 shown]
s_waitcnt 0                                        // wait for swizzle operation
v_accvgpr_write_b32 acc60, v5                      // 
v_accvgpr_write_b32 acc124, v6                     // 
v_accvgpr_write_b32 acc188, v7                     // 
v_accvgpr_write_b32 acc252, v8                     // 
v_accvgpr_read_b32 v5, acc205                      // glvw 9 mb 0 tt1 52 r 0
v_accvgpr_read_b32 v6, acc13                       // glvw 9 mb 0 tt1 52 r 0
v_accvgpr_read_b32 v7, acc77                       // glvw 9 mb 0 tt1 52 r 0
v_accvgpr_read_b32 v8, acc141                      // glvw 9 mb 0 tt1 52 r 0
s_nop 1                                            // v_accvgpr read vgpr after write vgpr: 2 wait states
ds_bpermute_b32 v5, v0, v5, offset:4               // permute edge values
ds_bpermute_b32 v6, v0, v6, offset:8               // permute edge values
	;; [unrolled: 1-line block ×4, first 2 shown]
s_waitcnt 0                                        // wait for swizzle operation
v_accvgpr_write_b32 acc13, v5                      // 
v_accvgpr_write_b32 acc77, v6                      // 
v_accvgpr_write_b32 acc141, v7                     // 
v_accvgpr_write_b32 acc205, v8                     // 
v_accvgpr_read_b32 v5, acc221                      // glvw 9 mb 0 tt1 53 r 0
v_accvgpr_read_b32 v6, acc29                       // glvw 9 mb 0 tt1 53 r 0
v_accvgpr_read_b32 v7, acc93                       // glvw 9 mb 0 tt1 53 r 0
v_accvgpr_read_b32 v8, acc157                      // glvw 9 mb 0 tt1 53 r 0
s_nop 1                                            // v_accvgpr read vgpr after write vgpr: 2 wait states
ds_bpermute_b32 v5, v0, v5, offset:4               // permute edge values
ds_bpermute_b32 v6, v0, v6, offset:8               // permute edge values
	;; [unrolled: 1-line block ×4, first 2 shown]
s_waitcnt 0                                        // wait for swizzle operation
v_accvgpr_write_b32 acc29, v5                      // 
v_accvgpr_write_b32 acc93, v6                      // 
v_accvgpr_write_b32 acc157, v7                     // 
v_accvgpr_write_b32 acc221, v8                     // 
v_accvgpr_read_b32 v5, acc237                      // glvw 9 mb 0 tt1 54 r 0
v_accvgpr_read_b32 v6, acc45                       // glvw 9 mb 0 tt1 54 r 0
v_accvgpr_read_b32 v7, acc109                      // glvw 9 mb 0 tt1 54 r 0
v_accvgpr_read_b32 v8, acc173                      // glvw 9 mb 0 tt1 54 r 0
s_nop 1                                            // v_accvgpr read vgpr after write vgpr: 2 wait states
ds_bpermute_b32 v5, v0, v5, offset:4               // permute edge values
ds_bpermute_b32 v6, v0, v6, offset:8               // permute edge values
	;; [unrolled: 1-line block ×4, first 2 shown]
s_waitcnt 0                                        // wait for swizzle operation
v_accvgpr_write_b32 acc45, v5                      // 
v_accvgpr_write_b32 acc109, v6                     // 
v_accvgpr_write_b32 acc173, v7                     // 
v_accvgpr_write_b32 acc237, v8                     // 
v_accvgpr_read_b32 v5, acc253                      // glvw 9 mb 0 tt1 55 r 0
v_accvgpr_read_b32 v6, acc61                       // glvw 9 mb 0 tt1 55 r 0
v_accvgpr_read_b32 v7, acc125                      // glvw 9 mb 0 tt1 55 r 0
v_accvgpr_read_b32 v8, acc189                      // glvw 9 mb 0 tt1 55 r 0
s_nop 1                                            // v_accvgpr read vgpr after write vgpr: 2 wait states
ds_bpermute_b32 v5, v0, v5, offset:4               // permute edge values
ds_bpermute_b32 v6, v0, v6, offset:8               // permute edge values
	;; [unrolled: 1-line block ×4, first 2 shown]
s_waitcnt 0                                        // wait for swizzle operation
v_accvgpr_write_b32 acc61, v5                      // 
v_accvgpr_write_b32 acc125, v6                     // 
v_accvgpr_write_b32 acc189, v7                     // 
v_accvgpr_write_b32 acc253, v8                     // 
v_accvgpr_read_b32 v5, acc206                      // glvw 9 mb 0 tt1 56 r 0
v_accvgpr_read_b32 v6, acc14                       // glvw 9 mb 0 tt1 56 r 0
v_accvgpr_read_b32 v7, acc78                       // glvw 9 mb 0 tt1 56 r 0
v_accvgpr_read_b32 v8, acc142                      // glvw 9 mb 0 tt1 56 r 0
s_nop 1                                            // v_accvgpr read vgpr after write vgpr: 2 wait states
ds_bpermute_b32 v5, v0, v5, offset:4               // permute edge values
ds_bpermute_b32 v6, v0, v6, offset:8               // permute edge values
	;; [unrolled: 1-line block ×4, first 2 shown]
s_waitcnt 0                                        // wait for swizzle operation
v_accvgpr_write_b32 acc14, v5                      // 
v_accvgpr_write_b32 acc78, v6                      // 
v_accvgpr_write_b32 acc142, v7                     // 
v_accvgpr_write_b32 acc206, v8                     // 
v_accvgpr_read_b32 v5, acc222                      // glvw 9 mb 0 tt1 57 r 0
v_accvgpr_read_b32 v6, acc30                       // glvw 9 mb 0 tt1 57 r 0
v_accvgpr_read_b32 v7, acc94                       // glvw 9 mb 0 tt1 57 r 0
v_accvgpr_read_b32 v8, acc158                      // glvw 9 mb 0 tt1 57 r 0
s_nop 1                                            // v_accvgpr read vgpr after write vgpr: 2 wait states
ds_bpermute_b32 v5, v0, v5, offset:4               // permute edge values
ds_bpermute_b32 v6, v0, v6, offset:8               // permute edge values
	;; [unrolled: 1-line block ×4, first 2 shown]
s_waitcnt 0                                        // wait for swizzle operation
v_accvgpr_write_b32 acc30, v5                      // 
v_accvgpr_write_b32 acc94, v6                      // 
v_accvgpr_write_b32 acc158, v7                     // 
v_accvgpr_write_b32 acc222, v8                     // 
v_accvgpr_read_b32 v5, acc238                      // glvw 9 mb 0 tt1 58 r 0
v_accvgpr_read_b32 v6, acc46                       // glvw 9 mb 0 tt1 58 r 0
v_accvgpr_read_b32 v7, acc110                      // glvw 9 mb 0 tt1 58 r 0
v_accvgpr_read_b32 v8, acc174                      // glvw 9 mb 0 tt1 58 r 0
s_nop 1                                            // v_accvgpr read vgpr after write vgpr: 2 wait states
ds_bpermute_b32 v5, v0, v5, offset:4               // permute edge values
ds_bpermute_b32 v6, v0, v6, offset:8               // permute edge values
	;; [unrolled: 1-line block ×4, first 2 shown]
s_waitcnt 0                                        // wait for swizzle operation
v_accvgpr_write_b32 acc46, v5                      // 
v_accvgpr_write_b32 acc110, v6                     // 
v_accvgpr_write_b32 acc174, v7                     // 
v_accvgpr_write_b32 acc238, v8                     // 
v_accvgpr_read_b32 v5, acc254                      // glvw 9 mb 0 tt1 59 r 0
v_accvgpr_read_b32 v6, acc62                       // glvw 9 mb 0 tt1 59 r 0
v_accvgpr_read_b32 v7, acc126                      // glvw 9 mb 0 tt1 59 r 0
v_accvgpr_read_b32 v8, acc190                      // glvw 9 mb 0 tt1 59 r 0
s_nop 1                                            // v_accvgpr read vgpr after write vgpr: 2 wait states
ds_bpermute_b32 v5, v0, v5, offset:4               // permute edge values
ds_bpermute_b32 v6, v0, v6, offset:8               // permute edge values
	;; [unrolled: 1-line block ×4, first 2 shown]
s_waitcnt 0                                        // wait for swizzle operation
v_accvgpr_write_b32 acc62, v5                      // 
v_accvgpr_write_b32 acc126, v6                     // 
v_accvgpr_write_b32 acc190, v7                     // 
v_accvgpr_write_b32 acc254, v8                     // 
v_accvgpr_read_b32 v5, acc207                      // glvw 9 mb 0 tt1 60 r 0
v_accvgpr_read_b32 v6, acc15                       // glvw 9 mb 0 tt1 60 r 0
v_accvgpr_read_b32 v7, acc79                       // glvw 9 mb 0 tt1 60 r 0
v_accvgpr_read_b32 v8, acc143                      // glvw 9 mb 0 tt1 60 r 0
s_nop 1                                            // v_accvgpr read vgpr after write vgpr: 2 wait states
ds_bpermute_b32 v5, v0, v5, offset:4               // permute edge values
ds_bpermute_b32 v6, v0, v6, offset:8               // permute edge values
	;; [unrolled: 1-line block ×4, first 2 shown]
s_waitcnt 0                                        // wait for swizzle operation
v_accvgpr_write_b32 acc15, v5                      // 
v_accvgpr_write_b32 acc79, v6                      // 
v_accvgpr_write_b32 acc143, v7                     // 
v_accvgpr_write_b32 acc207, v8                     // 
v_accvgpr_read_b32 v5, acc223                      // glvw 9 mb 0 tt1 61 r 0
v_accvgpr_read_b32 v6, acc31                       // glvw 9 mb 0 tt1 61 r 0
v_accvgpr_read_b32 v7, acc95                       // glvw 9 mb 0 tt1 61 r 0
v_accvgpr_read_b32 v8, acc159                      // glvw 9 mb 0 tt1 61 r 0
s_nop 1                                            // v_accvgpr read vgpr after write vgpr: 2 wait states
ds_bpermute_b32 v5, v0, v5, offset:4               // permute edge values
ds_bpermute_b32 v6, v0, v6, offset:8               // permute edge values
	;; [unrolled: 1-line block ×4, first 2 shown]
s_waitcnt 0                                        // wait for swizzle operation
v_accvgpr_write_b32 acc31, v5                      // 
v_accvgpr_write_b32 acc95, v6                      // 
v_accvgpr_write_b32 acc159, v7                     // 
v_accvgpr_write_b32 acc223, v8                     // 
v_accvgpr_read_b32 v5, acc239                      // glvw 9 mb 0 tt1 62 r 0
v_accvgpr_read_b32 v6, acc47                       // glvw 9 mb 0 tt1 62 r 0
v_accvgpr_read_b32 v7, acc111                      // glvw 9 mb 0 tt1 62 r 0
v_accvgpr_read_b32 v8, acc175                      // glvw 9 mb 0 tt1 62 r 0
s_nop 1                                            // v_accvgpr read vgpr after write vgpr: 2 wait states
ds_bpermute_b32 v5, v0, v5, offset:4               // permute edge values
ds_bpermute_b32 v6, v0, v6, offset:8               // permute edge values
	;; [unrolled: 1-line block ×4, first 2 shown]
s_waitcnt 0                                        // wait for swizzle operation
v_accvgpr_write_b32 acc47, v5                      // 
v_accvgpr_write_b32 acc111, v6                     // 
v_accvgpr_write_b32 acc175, v7                     // 
v_accvgpr_write_b32 acc239, v8                     // 
v_accvgpr_read_b32 v5, acc255                      // glvw 9 mb 0 tt1 63 r 0
v_accvgpr_read_b32 v6, acc63                       // glvw 9 mb 0 tt1 63 r 0
v_accvgpr_read_b32 v7, acc127                      // glvw 9 mb 0 tt1 63 r 0
v_accvgpr_read_b32 v8, acc191                      // glvw 9 mb 0 tt1 63 r 0
s_nop 1                                            // v_accvgpr read vgpr after write vgpr: 2 wait states
ds_bpermute_b32 v5, v0, v5, offset:4               // permute edge values
ds_bpermute_b32 v6, v0, v6, offset:8               // permute edge values
ds_bpermute_b32 v7, v0, v7, offset:8               // permute edge values
ds_bpermute_b32 v8, v0, v8, offset:8               // permute edge values
s_waitcnt 0                                        // wait for swizzle operation
v_accvgpr_write_b32 acc63, v5                      // 
v_accvgpr_write_b32 acc127, v6                     // 
v_accvgpr_write_b32 acc191, v7                     // 
v_accvgpr_write_b32 acc255, v8                     // 
s_mov_b64 s[42:43], 0xFFFFFFFFFFFFFFFF             // to restore all threads active
s_or_saveexec_b64 vcc, s[42:43]                    // all threads active
s_branch label_0222                                // done shifting


/******************************************/
/* shift d1 r=10 mb=0 vw0                 */
/******************************************/
label_0206: // r10 mb0 vw0 
s_mov_b32 s42, 0                                   // 
_v_cmpx_eq_u32 s[42:43], v4, s42                   // is thread in edge glvw region
v_and_b32 v0, 63, v[vgprSerial]                    // permute register between threads
v_lshlrev_b32 v0, 2, v0                            // permute register between threads
v_accvgpr_read_b32 v5, acc128                      // glvw 10 mb 0 tt1 0 r 0
v_accvgpr_read_b32 v6, acc192                      // glvw 10 mb 0 tt1 0 r 0
v_accvgpr_read_b32 v7, acc0                        // glvw 10 mb 0 tt1 0 r 0
v_accvgpr_read_b32 v8, acc64                       // glvw 10 mb 0 tt1 0 r 0
s_nop 1                                            // v_accvgpr read vgpr after write vgpr: 2 wait states
ds_bpermute_b32 v5, v0, v5, offset:4               // permute edge values
ds_bpermute_b32 v6, v0, v6, offset:4               // permute edge values
ds_bpermute_b32 v7, v0, v7, offset:8               // permute edge values
ds_bpermute_b32 v8, v0, v8, offset:8               // permute edge values
s_waitcnt 0                                        // wait for swizzle operation
v_accvgpr_write_b32 acc0, v5                       // 
v_accvgpr_write_b32 acc64, v6                      // 
v_accvgpr_write_b32 acc128, v7                     // 
v_accvgpr_write_b32 acc192, v8                     // 
v_accvgpr_read_b32 v5, acc144                      // glvw 10 mb 0 tt1 1 r 0
v_accvgpr_read_b32 v6, acc208                      // glvw 10 mb 0 tt1 1 r 0
v_accvgpr_read_b32 v7, acc16                       // glvw 10 mb 0 tt1 1 r 0
v_accvgpr_read_b32 v8, acc80                       // glvw 10 mb 0 tt1 1 r 0
s_nop 1                                            // v_accvgpr read vgpr after write vgpr: 2 wait states
ds_bpermute_b32 v5, v0, v5, offset:4               // permute edge values
ds_bpermute_b32 v6, v0, v6, offset:4               // permute edge values
	;; [unrolled: 1-line block ×4, first 2 shown]
s_waitcnt 0                                        // wait for swizzle operation
v_accvgpr_write_b32 acc16, v5                      // 
v_accvgpr_write_b32 acc80, v6                      // 
v_accvgpr_write_b32 acc144, v7                     // 
v_accvgpr_write_b32 acc208, v8                     // 
v_accvgpr_read_b32 v5, acc160                      // glvw 10 mb 0 tt1 2 r 0
v_accvgpr_read_b32 v6, acc224                      // glvw 10 mb 0 tt1 2 r 0
v_accvgpr_read_b32 v7, acc32                       // glvw 10 mb 0 tt1 2 r 0
v_accvgpr_read_b32 v8, acc96                       // glvw 10 mb 0 tt1 2 r 0
s_nop 1                                            // v_accvgpr read vgpr after write vgpr: 2 wait states
ds_bpermute_b32 v5, v0, v5, offset:4               // permute edge values
ds_bpermute_b32 v6, v0, v6, offset:4               // permute edge values
	;; [unrolled: 1-line block ×4, first 2 shown]
s_waitcnt 0                                        // wait for swizzle operation
v_accvgpr_write_b32 acc32, v5                      // 
v_accvgpr_write_b32 acc96, v6                      // 
v_accvgpr_write_b32 acc160, v7                     // 
v_accvgpr_write_b32 acc224, v8                     // 
v_accvgpr_read_b32 v5, acc176                      // glvw 10 mb 0 tt1 3 r 0
v_accvgpr_read_b32 v6, acc240                      // glvw 10 mb 0 tt1 3 r 0
v_accvgpr_read_b32 v7, acc48                       // glvw 10 mb 0 tt1 3 r 0
v_accvgpr_read_b32 v8, acc112                      // glvw 10 mb 0 tt1 3 r 0
s_nop 1                                            // v_accvgpr read vgpr after write vgpr: 2 wait states
ds_bpermute_b32 v5, v0, v5, offset:4               // permute edge values
ds_bpermute_b32 v6, v0, v6, offset:4               // permute edge values
	;; [unrolled: 1-line block ×4, first 2 shown]
s_waitcnt 0                                        // wait for swizzle operation
v_accvgpr_write_b32 acc48, v5                      // 
v_accvgpr_write_b32 acc112, v6                     // 
v_accvgpr_write_b32 acc176, v7                     // 
v_accvgpr_write_b32 acc240, v8                     // 
v_accvgpr_read_b32 v5, acc129                      // glvw 10 mb 0 tt1 4 r 0
v_accvgpr_read_b32 v6, acc193                      // glvw 10 mb 0 tt1 4 r 0
v_accvgpr_read_b32 v7, acc1                        // glvw 10 mb 0 tt1 4 r 0
v_accvgpr_read_b32 v8, acc65                       // glvw 10 mb 0 tt1 4 r 0
s_nop 1                                            // v_accvgpr read vgpr after write vgpr: 2 wait states
ds_bpermute_b32 v5, v0, v5, offset:4               // permute edge values
ds_bpermute_b32 v6, v0, v6, offset:4               // permute edge values
	;; [unrolled: 1-line block ×4, first 2 shown]
s_waitcnt 0                                        // wait for swizzle operation
v_accvgpr_write_b32 acc1, v5                       // 
v_accvgpr_write_b32 acc65, v6                      // 
v_accvgpr_write_b32 acc129, v7                     // 
v_accvgpr_write_b32 acc193, v8                     // 
v_accvgpr_read_b32 v5, acc145                      // glvw 10 mb 0 tt1 5 r 0
v_accvgpr_read_b32 v6, acc209                      // glvw 10 mb 0 tt1 5 r 0
v_accvgpr_read_b32 v7, acc17                       // glvw 10 mb 0 tt1 5 r 0
v_accvgpr_read_b32 v8, acc81                       // glvw 10 mb 0 tt1 5 r 0
s_nop 1                                            // v_accvgpr read vgpr after write vgpr: 2 wait states
ds_bpermute_b32 v5, v0, v5, offset:4               // permute edge values
ds_bpermute_b32 v6, v0, v6, offset:4               // permute edge values
	;; [unrolled: 1-line block ×4, first 2 shown]
s_waitcnt 0                                        // wait for swizzle operation
v_accvgpr_write_b32 acc17, v5                      // 
v_accvgpr_write_b32 acc81, v6                      // 
v_accvgpr_write_b32 acc145, v7                     // 
v_accvgpr_write_b32 acc209, v8                     // 
v_accvgpr_read_b32 v5, acc161                      // glvw 10 mb 0 tt1 6 r 0
v_accvgpr_read_b32 v6, acc225                      // glvw 10 mb 0 tt1 6 r 0
v_accvgpr_read_b32 v7, acc33                       // glvw 10 mb 0 tt1 6 r 0
v_accvgpr_read_b32 v8, acc97                       // glvw 10 mb 0 tt1 6 r 0
s_nop 1                                            // v_accvgpr read vgpr after write vgpr: 2 wait states
ds_bpermute_b32 v5, v0, v5, offset:4               // permute edge values
ds_bpermute_b32 v6, v0, v6, offset:4               // permute edge values
	;; [unrolled: 1-line block ×4, first 2 shown]
s_waitcnt 0                                        // wait for swizzle operation
v_accvgpr_write_b32 acc33, v5                      // 
v_accvgpr_write_b32 acc97, v6                      // 
v_accvgpr_write_b32 acc161, v7                     // 
v_accvgpr_write_b32 acc225, v8                     // 
v_accvgpr_read_b32 v5, acc177                      // glvw 10 mb 0 tt1 7 r 0
v_accvgpr_read_b32 v6, acc241                      // glvw 10 mb 0 tt1 7 r 0
v_accvgpr_read_b32 v7, acc49                       // glvw 10 mb 0 tt1 7 r 0
v_accvgpr_read_b32 v8, acc113                      // glvw 10 mb 0 tt1 7 r 0
s_nop 1                                            // v_accvgpr read vgpr after write vgpr: 2 wait states
ds_bpermute_b32 v5, v0, v5, offset:4               // permute edge values
ds_bpermute_b32 v6, v0, v6, offset:4               // permute edge values
	;; [unrolled: 1-line block ×4, first 2 shown]
s_waitcnt 0                                        // wait for swizzle operation
v_accvgpr_write_b32 acc49, v5                      // 
v_accvgpr_write_b32 acc113, v6                     // 
v_accvgpr_write_b32 acc177, v7                     // 
v_accvgpr_write_b32 acc241, v8                     // 
v_accvgpr_read_b32 v5, acc130                      // glvw 10 mb 0 tt1 8 r 0
v_accvgpr_read_b32 v6, acc194                      // glvw 10 mb 0 tt1 8 r 0
v_accvgpr_read_b32 v7, acc2                        // glvw 10 mb 0 tt1 8 r 0
v_accvgpr_read_b32 v8, acc66                       // glvw 10 mb 0 tt1 8 r 0
s_nop 1                                            // v_accvgpr read vgpr after write vgpr: 2 wait states
ds_bpermute_b32 v5, v0, v5, offset:4               // permute edge values
ds_bpermute_b32 v6, v0, v6, offset:4               // permute edge values
	;; [unrolled: 1-line block ×4, first 2 shown]
s_waitcnt 0                                        // wait for swizzle operation
v_accvgpr_write_b32 acc2, v5                       // 
v_accvgpr_write_b32 acc66, v6                      // 
v_accvgpr_write_b32 acc130, v7                     // 
v_accvgpr_write_b32 acc194, v8                     // 
v_accvgpr_read_b32 v5, acc146                      // glvw 10 mb 0 tt1 9 r 0
v_accvgpr_read_b32 v6, acc210                      // glvw 10 mb 0 tt1 9 r 0
v_accvgpr_read_b32 v7, acc18                       // glvw 10 mb 0 tt1 9 r 0
v_accvgpr_read_b32 v8, acc82                       // glvw 10 mb 0 tt1 9 r 0
s_nop 1                                            // v_accvgpr read vgpr after write vgpr: 2 wait states
ds_bpermute_b32 v5, v0, v5, offset:4               // permute edge values
ds_bpermute_b32 v6, v0, v6, offset:4               // permute edge values
	;; [unrolled: 1-line block ×4, first 2 shown]
s_waitcnt 0                                        // wait for swizzle operation
v_accvgpr_write_b32 acc18, v5                      // 
v_accvgpr_write_b32 acc82, v6                      // 
v_accvgpr_write_b32 acc146, v7                     // 
v_accvgpr_write_b32 acc210, v8                     // 
v_accvgpr_read_b32 v5, acc162                      // glvw 10 mb 0 tt1 10 r 0
v_accvgpr_read_b32 v6, acc226                      // glvw 10 mb 0 tt1 10 r 0
v_accvgpr_read_b32 v7, acc34                       // glvw 10 mb 0 tt1 10 r 0
v_accvgpr_read_b32 v8, acc98                       // glvw 10 mb 0 tt1 10 r 0
s_nop 1                                            // v_accvgpr read vgpr after write vgpr: 2 wait states
ds_bpermute_b32 v5, v0, v5, offset:4               // permute edge values
ds_bpermute_b32 v6, v0, v6, offset:4               // permute edge values
	;; [unrolled: 1-line block ×4, first 2 shown]
s_waitcnt 0                                        // wait for swizzle operation
v_accvgpr_write_b32 acc34, v5                      // 
v_accvgpr_write_b32 acc98, v6                      // 
v_accvgpr_write_b32 acc162, v7                     // 
v_accvgpr_write_b32 acc226, v8                     // 
v_accvgpr_read_b32 v5, acc178                      // glvw 10 mb 0 tt1 11 r 0
v_accvgpr_read_b32 v6, acc242                      // glvw 10 mb 0 tt1 11 r 0
v_accvgpr_read_b32 v7, acc50                       // glvw 10 mb 0 tt1 11 r 0
v_accvgpr_read_b32 v8, acc114                      // glvw 10 mb 0 tt1 11 r 0
s_nop 1                                            // v_accvgpr read vgpr after write vgpr: 2 wait states
ds_bpermute_b32 v5, v0, v5, offset:4               // permute edge values
ds_bpermute_b32 v6, v0, v6, offset:4               // permute edge values
	;; [unrolled: 1-line block ×4, first 2 shown]
s_waitcnt 0                                        // wait for swizzle operation
v_accvgpr_write_b32 acc50, v5                      // 
v_accvgpr_write_b32 acc114, v6                     // 
v_accvgpr_write_b32 acc178, v7                     // 
v_accvgpr_write_b32 acc242, v8                     // 
v_accvgpr_read_b32 v5, acc131                      // glvw 10 mb 0 tt1 12 r 0
v_accvgpr_read_b32 v6, acc195                      // glvw 10 mb 0 tt1 12 r 0
v_accvgpr_read_b32 v7, acc3                        // glvw 10 mb 0 tt1 12 r 0
v_accvgpr_read_b32 v8, acc67                       // glvw 10 mb 0 tt1 12 r 0
s_nop 1                                            // v_accvgpr read vgpr after write vgpr: 2 wait states
ds_bpermute_b32 v5, v0, v5, offset:4               // permute edge values
ds_bpermute_b32 v6, v0, v6, offset:4               // permute edge values
ds_bpermute_b32 v7, v0, v7, offset:8               // permute edge values
ds_bpermute_b32 v8, v0, v8, offset:8               // permute edge values
s_waitcnt 0                                        // wait for swizzle operation
v_accvgpr_write_b32 acc3, v5                       // 
v_accvgpr_write_b32 acc67, v6                      // 
v_accvgpr_write_b32 acc131, v7                     // 
v_accvgpr_write_b32 acc195, v8                     // 
v_accvgpr_read_b32 v5, acc147                      // glvw 10 mb 0 tt1 13 r 0
v_accvgpr_read_b32 v6, acc211                      // glvw 10 mb 0 tt1 13 r 0
v_accvgpr_read_b32 v7, acc19                       // glvw 10 mb 0 tt1 13 r 0
v_accvgpr_read_b32 v8, acc83                       // glvw 10 mb 0 tt1 13 r 0
s_nop 1                                            // v_accvgpr read vgpr after write vgpr: 2 wait states
ds_bpermute_b32 v5, v0, v5, offset:4               // permute edge values
ds_bpermute_b32 v6, v0, v6, offset:4               // permute edge values
ds_bpermute_b32 v7, v0, v7, offset:8               // permute edge values
ds_bpermute_b32 v8, v0, v8, offset:8               // permute edge values
s_waitcnt 0                                        // wait for swizzle operation
v_accvgpr_write_b32 acc19, v5                      // 
v_accvgpr_write_b32 acc83, v6                      // 
v_accvgpr_write_b32 acc147, v7                     // 
v_accvgpr_write_b32 acc211, v8                     // 
v_accvgpr_read_b32 v5, acc163                      // glvw 10 mb 0 tt1 14 r 0
v_accvgpr_read_b32 v6, acc227                      // glvw 10 mb 0 tt1 14 r 0
v_accvgpr_read_b32 v7, acc35                       // glvw 10 mb 0 tt1 14 r 0
v_accvgpr_read_b32 v8, acc99                       // glvw 10 mb 0 tt1 14 r 0
s_nop 1                                            // v_accvgpr read vgpr after write vgpr: 2 wait states
ds_bpermute_b32 v5, v0, v5, offset:4               // permute edge values
ds_bpermute_b32 v6, v0, v6, offset:4               // permute edge values
	;; [unrolled: 1-line block ×4, first 2 shown]
s_waitcnt 0                                        // wait for swizzle operation
v_accvgpr_write_b32 acc35, v5                      // 
v_accvgpr_write_b32 acc99, v6                      // 
v_accvgpr_write_b32 acc163, v7                     // 
v_accvgpr_write_b32 acc227, v8                     // 
v_accvgpr_read_b32 v5, acc179                      // glvw 10 mb 0 tt1 15 r 0
v_accvgpr_read_b32 v6, acc243                      // glvw 10 mb 0 tt1 15 r 0
v_accvgpr_read_b32 v7, acc51                       // glvw 10 mb 0 tt1 15 r 0
v_accvgpr_read_b32 v8, acc115                      // glvw 10 mb 0 tt1 15 r 0
s_nop 1                                            // v_accvgpr read vgpr after write vgpr: 2 wait states
ds_bpermute_b32 v5, v0, v5, offset:4               // permute edge values
ds_bpermute_b32 v6, v0, v6, offset:4               // permute edge values
	;; [unrolled: 1-line block ×4, first 2 shown]
s_waitcnt 0                                        // wait for swizzle operation
v_accvgpr_write_b32 acc51, v5                      // 
v_accvgpr_write_b32 acc115, v6                     // 
v_accvgpr_write_b32 acc179, v7                     // 
v_accvgpr_write_b32 acc243, v8                     // 
v_accvgpr_read_b32 v5, acc132                      // glvw 10 mb 0 tt1 16 r 0
v_accvgpr_read_b32 v6, acc196                      // glvw 10 mb 0 tt1 16 r 0
v_accvgpr_read_b32 v7, acc4                        // glvw 10 mb 0 tt1 16 r 0
v_accvgpr_read_b32 v8, acc68                       // glvw 10 mb 0 tt1 16 r 0
s_nop 1                                            // v_accvgpr read vgpr after write vgpr: 2 wait states
ds_bpermute_b32 v5, v0, v5, offset:4               // permute edge values
ds_bpermute_b32 v6, v0, v6, offset:4               // permute edge values
	;; [unrolled: 1-line block ×4, first 2 shown]
s_waitcnt 0                                        // wait for swizzle operation
v_accvgpr_write_b32 acc4, v5                       // 
v_accvgpr_write_b32 acc68, v6                      // 
v_accvgpr_write_b32 acc132, v7                     // 
v_accvgpr_write_b32 acc196, v8                     // 
v_accvgpr_read_b32 v5, acc148                      // glvw 10 mb 0 tt1 17 r 0
v_accvgpr_read_b32 v6, acc212                      // glvw 10 mb 0 tt1 17 r 0
v_accvgpr_read_b32 v7, acc20                       // glvw 10 mb 0 tt1 17 r 0
v_accvgpr_read_b32 v8, acc84                       // glvw 10 mb 0 tt1 17 r 0
s_nop 1                                            // v_accvgpr read vgpr after write vgpr: 2 wait states
ds_bpermute_b32 v5, v0, v5, offset:4               // permute edge values
ds_bpermute_b32 v6, v0, v6, offset:4               // permute edge values
	;; [unrolled: 1-line block ×4, first 2 shown]
s_waitcnt 0                                        // wait for swizzle operation
v_accvgpr_write_b32 acc20, v5                      // 
v_accvgpr_write_b32 acc84, v6                      // 
v_accvgpr_write_b32 acc148, v7                     // 
v_accvgpr_write_b32 acc212, v8                     // 
v_accvgpr_read_b32 v5, acc164                      // glvw 10 mb 0 tt1 18 r 0
v_accvgpr_read_b32 v6, acc228                      // glvw 10 mb 0 tt1 18 r 0
v_accvgpr_read_b32 v7, acc36                       // glvw 10 mb 0 tt1 18 r 0
v_accvgpr_read_b32 v8, acc100                      // glvw 10 mb 0 tt1 18 r 0
s_nop 1                                            // v_accvgpr read vgpr after write vgpr: 2 wait states
ds_bpermute_b32 v5, v0, v5, offset:4               // permute edge values
ds_bpermute_b32 v6, v0, v6, offset:4               // permute edge values
	;; [unrolled: 1-line block ×4, first 2 shown]
s_waitcnt 0                                        // wait for swizzle operation
v_accvgpr_write_b32 acc36, v5                      // 
v_accvgpr_write_b32 acc100, v6                     // 
v_accvgpr_write_b32 acc164, v7                     // 
v_accvgpr_write_b32 acc228, v8                     // 
v_accvgpr_read_b32 v5, acc180                      // glvw 10 mb 0 tt1 19 r 0
v_accvgpr_read_b32 v6, acc244                      // glvw 10 mb 0 tt1 19 r 0
v_accvgpr_read_b32 v7, acc52                       // glvw 10 mb 0 tt1 19 r 0
v_accvgpr_read_b32 v8, acc116                      // glvw 10 mb 0 tt1 19 r 0
s_nop 1                                            // v_accvgpr read vgpr after write vgpr: 2 wait states
ds_bpermute_b32 v5, v0, v5, offset:4               // permute edge values
ds_bpermute_b32 v6, v0, v6, offset:4               // permute edge values
	;; [unrolled: 1-line block ×4, first 2 shown]
s_waitcnt 0                                        // wait for swizzle operation
v_accvgpr_write_b32 acc52, v5                      // 
v_accvgpr_write_b32 acc116, v6                     // 
v_accvgpr_write_b32 acc180, v7                     // 
v_accvgpr_write_b32 acc244, v8                     // 
v_accvgpr_read_b32 v5, acc133                      // glvw 10 mb 0 tt1 20 r 0
v_accvgpr_read_b32 v6, acc197                      // glvw 10 mb 0 tt1 20 r 0
v_accvgpr_read_b32 v7, acc5                        // glvw 10 mb 0 tt1 20 r 0
v_accvgpr_read_b32 v8, acc69                       // glvw 10 mb 0 tt1 20 r 0
s_nop 1                                            // v_accvgpr read vgpr after write vgpr: 2 wait states
ds_bpermute_b32 v5, v0, v5, offset:4               // permute edge values
ds_bpermute_b32 v6, v0, v6, offset:4               // permute edge values
	;; [unrolled: 1-line block ×4, first 2 shown]
s_waitcnt 0                                        // wait for swizzle operation
v_accvgpr_write_b32 acc5, v5                       // 
v_accvgpr_write_b32 acc69, v6                      // 
v_accvgpr_write_b32 acc133, v7                     // 
v_accvgpr_write_b32 acc197, v8                     // 
v_accvgpr_read_b32 v5, acc149                      // glvw 10 mb 0 tt1 21 r 0
v_accvgpr_read_b32 v6, acc213                      // glvw 10 mb 0 tt1 21 r 0
v_accvgpr_read_b32 v7, acc21                       // glvw 10 mb 0 tt1 21 r 0
v_accvgpr_read_b32 v8, acc85                       // glvw 10 mb 0 tt1 21 r 0
s_nop 1                                            // v_accvgpr read vgpr after write vgpr: 2 wait states
ds_bpermute_b32 v5, v0, v5, offset:4               // permute edge values
ds_bpermute_b32 v6, v0, v6, offset:4               // permute edge values
	;; [unrolled: 1-line block ×4, first 2 shown]
s_waitcnt 0                                        // wait for swizzle operation
v_accvgpr_write_b32 acc21, v5                      // 
v_accvgpr_write_b32 acc85, v6                      // 
v_accvgpr_write_b32 acc149, v7                     // 
v_accvgpr_write_b32 acc213, v8                     // 
v_accvgpr_read_b32 v5, acc165                      // glvw 10 mb 0 tt1 22 r 0
v_accvgpr_read_b32 v6, acc229                      // glvw 10 mb 0 tt1 22 r 0
v_accvgpr_read_b32 v7, acc37                       // glvw 10 mb 0 tt1 22 r 0
v_accvgpr_read_b32 v8, acc101                      // glvw 10 mb 0 tt1 22 r 0
s_nop 1                                            // v_accvgpr read vgpr after write vgpr: 2 wait states
ds_bpermute_b32 v5, v0, v5, offset:4               // permute edge values
ds_bpermute_b32 v6, v0, v6, offset:4               // permute edge values
	;; [unrolled: 1-line block ×4, first 2 shown]
s_waitcnt 0                                        // wait for swizzle operation
v_accvgpr_write_b32 acc37, v5                      // 
v_accvgpr_write_b32 acc101, v6                     // 
v_accvgpr_write_b32 acc165, v7                     // 
v_accvgpr_write_b32 acc229, v8                     // 
v_accvgpr_read_b32 v5, acc181                      // glvw 10 mb 0 tt1 23 r 0
v_accvgpr_read_b32 v6, acc245                      // glvw 10 mb 0 tt1 23 r 0
v_accvgpr_read_b32 v7, acc53                       // glvw 10 mb 0 tt1 23 r 0
v_accvgpr_read_b32 v8, acc117                      // glvw 10 mb 0 tt1 23 r 0
s_nop 1                                            // v_accvgpr read vgpr after write vgpr: 2 wait states
ds_bpermute_b32 v5, v0, v5, offset:4               // permute edge values
ds_bpermute_b32 v6, v0, v6, offset:4               // permute edge values
	;; [unrolled: 1-line block ×4, first 2 shown]
s_waitcnt 0                                        // wait for swizzle operation
v_accvgpr_write_b32 acc53, v5                      // 
v_accvgpr_write_b32 acc117, v6                     // 
v_accvgpr_write_b32 acc181, v7                     // 
v_accvgpr_write_b32 acc245, v8                     // 
v_accvgpr_read_b32 v5, acc134                      // glvw 10 mb 0 tt1 24 r 0
v_accvgpr_read_b32 v6, acc198                      // glvw 10 mb 0 tt1 24 r 0
v_accvgpr_read_b32 v7, acc6                        // glvw 10 mb 0 tt1 24 r 0
v_accvgpr_read_b32 v8, acc70                       // glvw 10 mb 0 tt1 24 r 0
s_nop 1                                            // v_accvgpr read vgpr after write vgpr: 2 wait states
ds_bpermute_b32 v5, v0, v5, offset:4               // permute edge values
ds_bpermute_b32 v6, v0, v6, offset:4               // permute edge values
	;; [unrolled: 1-line block ×4, first 2 shown]
s_waitcnt 0                                        // wait for swizzle operation
v_accvgpr_write_b32 acc6, v5                       // 
v_accvgpr_write_b32 acc70, v6                      // 
v_accvgpr_write_b32 acc134, v7                     // 
v_accvgpr_write_b32 acc198, v8                     // 
v_accvgpr_read_b32 v5, acc150                      // glvw 10 mb 0 tt1 25 r 0
v_accvgpr_read_b32 v6, acc214                      // glvw 10 mb 0 tt1 25 r 0
v_accvgpr_read_b32 v7, acc22                       // glvw 10 mb 0 tt1 25 r 0
v_accvgpr_read_b32 v8, acc86                       // glvw 10 mb 0 tt1 25 r 0
s_nop 1                                            // v_accvgpr read vgpr after write vgpr: 2 wait states
ds_bpermute_b32 v5, v0, v5, offset:4               // permute edge values
ds_bpermute_b32 v6, v0, v6, offset:4               // permute edge values
	;; [unrolled: 1-line block ×4, first 2 shown]
s_waitcnt 0                                        // wait for swizzle operation
v_accvgpr_write_b32 acc22, v5                      // 
v_accvgpr_write_b32 acc86, v6                      // 
v_accvgpr_write_b32 acc150, v7                     // 
v_accvgpr_write_b32 acc214, v8                     // 
v_accvgpr_read_b32 v5, acc166                      // glvw 10 mb 0 tt1 26 r 0
v_accvgpr_read_b32 v6, acc230                      // glvw 10 mb 0 tt1 26 r 0
v_accvgpr_read_b32 v7, acc38                       // glvw 10 mb 0 tt1 26 r 0
v_accvgpr_read_b32 v8, acc102                      // glvw 10 mb 0 tt1 26 r 0
s_nop 1                                            // v_accvgpr read vgpr after write vgpr: 2 wait states
ds_bpermute_b32 v5, v0, v5, offset:4               // permute edge values
ds_bpermute_b32 v6, v0, v6, offset:4               // permute edge values
	;; [unrolled: 1-line block ×4, first 2 shown]
s_waitcnt 0                                        // wait for swizzle operation
v_accvgpr_write_b32 acc38, v5                      // 
v_accvgpr_write_b32 acc102, v6                     // 
v_accvgpr_write_b32 acc166, v7                     // 
v_accvgpr_write_b32 acc230, v8                     // 
v_accvgpr_read_b32 v5, acc182                      // glvw 10 mb 0 tt1 27 r 0
v_accvgpr_read_b32 v6, acc246                      // glvw 10 mb 0 tt1 27 r 0
v_accvgpr_read_b32 v7, acc54                       // glvw 10 mb 0 tt1 27 r 0
v_accvgpr_read_b32 v8, acc118                      // glvw 10 mb 0 tt1 27 r 0
s_nop 1                                            // v_accvgpr read vgpr after write vgpr: 2 wait states
ds_bpermute_b32 v5, v0, v5, offset:4               // permute edge values
ds_bpermute_b32 v6, v0, v6, offset:4               // permute edge values
	;; [unrolled: 1-line block ×4, first 2 shown]
s_waitcnt 0                                        // wait for swizzle operation
v_accvgpr_write_b32 acc54, v5                      // 
v_accvgpr_write_b32 acc118, v6                     // 
v_accvgpr_write_b32 acc182, v7                     // 
v_accvgpr_write_b32 acc246, v8                     // 
v_accvgpr_read_b32 v5, acc135                      // glvw 10 mb 0 tt1 28 r 0
v_accvgpr_read_b32 v6, acc199                      // glvw 10 mb 0 tt1 28 r 0
v_accvgpr_read_b32 v7, acc7                        // glvw 10 mb 0 tt1 28 r 0
v_accvgpr_read_b32 v8, acc71                       // glvw 10 mb 0 tt1 28 r 0
s_nop 1                                            // v_accvgpr read vgpr after write vgpr: 2 wait states
ds_bpermute_b32 v5, v0, v5, offset:4               // permute edge values
ds_bpermute_b32 v6, v0, v6, offset:4               // permute edge values
	;; [unrolled: 1-line block ×4, first 2 shown]
s_waitcnt 0                                        // wait for swizzle operation
v_accvgpr_write_b32 acc7, v5                       // 
v_accvgpr_write_b32 acc71, v6                      // 
v_accvgpr_write_b32 acc135, v7                     // 
v_accvgpr_write_b32 acc199, v8                     // 
v_accvgpr_read_b32 v5, acc151                      // glvw 10 mb 0 tt1 29 r 0
v_accvgpr_read_b32 v6, acc215                      // glvw 10 mb 0 tt1 29 r 0
v_accvgpr_read_b32 v7, acc23                       // glvw 10 mb 0 tt1 29 r 0
v_accvgpr_read_b32 v8, acc87                       // glvw 10 mb 0 tt1 29 r 0
s_nop 1                                            // v_accvgpr read vgpr after write vgpr: 2 wait states
ds_bpermute_b32 v5, v0, v5, offset:4               // permute edge values
ds_bpermute_b32 v6, v0, v6, offset:4               // permute edge values
	;; [unrolled: 1-line block ×4, first 2 shown]
s_waitcnt 0                                        // wait for swizzle operation
v_accvgpr_write_b32 acc23, v5                      // 
v_accvgpr_write_b32 acc87, v6                      // 
v_accvgpr_write_b32 acc151, v7                     // 
v_accvgpr_write_b32 acc215, v8                     // 
v_accvgpr_read_b32 v5, acc167                      // glvw 10 mb 0 tt1 30 r 0
v_accvgpr_read_b32 v6, acc231                      // glvw 10 mb 0 tt1 30 r 0
v_accvgpr_read_b32 v7, acc39                       // glvw 10 mb 0 tt1 30 r 0
v_accvgpr_read_b32 v8, acc103                      // glvw 10 mb 0 tt1 30 r 0
s_nop 1                                            // v_accvgpr read vgpr after write vgpr: 2 wait states
ds_bpermute_b32 v5, v0, v5, offset:4               // permute edge values
ds_bpermute_b32 v6, v0, v6, offset:4               // permute edge values
ds_bpermute_b32 v7, v0, v7, offset:8               // permute edge values
ds_bpermute_b32 v8, v0, v8, offset:8               // permute edge values
s_waitcnt 0                                        // wait for swizzle operation
v_accvgpr_write_b32 acc39, v5                      // 
v_accvgpr_write_b32 acc103, v6                     // 
v_accvgpr_write_b32 acc167, v7                     // 
v_accvgpr_write_b32 acc231, v8                     // 
v_accvgpr_read_b32 v5, acc183                      // glvw 10 mb 0 tt1 31 r 0
v_accvgpr_read_b32 v6, acc247                      // glvw 10 mb 0 tt1 31 r 0
v_accvgpr_read_b32 v7, acc55                       // glvw 10 mb 0 tt1 31 r 0
v_accvgpr_read_b32 v8, acc119                      // glvw 10 mb 0 tt1 31 r 0
s_nop 1                                            // v_accvgpr read vgpr after write vgpr: 2 wait states
ds_bpermute_b32 v5, v0, v5, offset:4               // permute edge values
ds_bpermute_b32 v6, v0, v6, offset:4               // permute edge values
	;; [unrolled: 1-line block ×4, first 2 shown]
s_waitcnt 0                                        // wait for swizzle operation
v_accvgpr_write_b32 acc55, v5                      // 
v_accvgpr_write_b32 acc119, v6                     // 
v_accvgpr_write_b32 acc183, v7                     // 
v_accvgpr_write_b32 acc247, v8                     // 
v_accvgpr_read_b32 v5, acc136                      // glvw 10 mb 0 tt1 32 r 0
v_accvgpr_read_b32 v6, acc200                      // glvw 10 mb 0 tt1 32 r 0
v_accvgpr_read_b32 v7, acc8                        // glvw 10 mb 0 tt1 32 r 0
v_accvgpr_read_b32 v8, acc72                       // glvw 10 mb 0 tt1 32 r 0
s_nop 1                                            // v_accvgpr read vgpr after write vgpr: 2 wait states
ds_bpermute_b32 v5, v0, v5, offset:4               // permute edge values
ds_bpermute_b32 v6, v0, v6, offset:4               // permute edge values
	;; [unrolled: 1-line block ×4, first 2 shown]
s_waitcnt 0                                        // wait for swizzle operation
v_accvgpr_write_b32 acc8, v5                       // 
v_accvgpr_write_b32 acc72, v6                      // 
v_accvgpr_write_b32 acc136, v7                     // 
v_accvgpr_write_b32 acc200, v8                     // 
v_accvgpr_read_b32 v5, acc152                      // glvw 10 mb 0 tt1 33 r 0
v_accvgpr_read_b32 v6, acc216                      // glvw 10 mb 0 tt1 33 r 0
v_accvgpr_read_b32 v7, acc24                       // glvw 10 mb 0 tt1 33 r 0
v_accvgpr_read_b32 v8, acc88                       // glvw 10 mb 0 tt1 33 r 0
s_nop 1                                            // v_accvgpr read vgpr after write vgpr: 2 wait states
ds_bpermute_b32 v5, v0, v5, offset:4               // permute edge values
ds_bpermute_b32 v6, v0, v6, offset:4               // permute edge values
	;; [unrolled: 1-line block ×4, first 2 shown]
s_waitcnt 0                                        // wait for swizzle operation
v_accvgpr_write_b32 acc24, v5                      // 
v_accvgpr_write_b32 acc88, v6                      // 
v_accvgpr_write_b32 acc152, v7                     // 
v_accvgpr_write_b32 acc216, v8                     // 
v_accvgpr_read_b32 v5, acc168                      // glvw 10 mb 0 tt1 34 r 0
v_accvgpr_read_b32 v6, acc232                      // glvw 10 mb 0 tt1 34 r 0
v_accvgpr_read_b32 v7, acc40                       // glvw 10 mb 0 tt1 34 r 0
v_accvgpr_read_b32 v8, acc104                      // glvw 10 mb 0 tt1 34 r 0
s_nop 1                                            // v_accvgpr read vgpr after write vgpr: 2 wait states
ds_bpermute_b32 v5, v0, v5, offset:4               // permute edge values
ds_bpermute_b32 v6, v0, v6, offset:4               // permute edge values
	;; [unrolled: 1-line block ×4, first 2 shown]
s_waitcnt 0                                        // wait for swizzle operation
v_accvgpr_write_b32 acc40, v5                      // 
v_accvgpr_write_b32 acc104, v6                     // 
v_accvgpr_write_b32 acc168, v7                     // 
v_accvgpr_write_b32 acc232, v8                     // 
v_accvgpr_read_b32 v5, acc184                      // glvw 10 mb 0 tt1 35 r 0
v_accvgpr_read_b32 v6, acc248                      // glvw 10 mb 0 tt1 35 r 0
v_accvgpr_read_b32 v7, acc56                       // glvw 10 mb 0 tt1 35 r 0
v_accvgpr_read_b32 v8, acc120                      // glvw 10 mb 0 tt1 35 r 0
s_nop 1                                            // v_accvgpr read vgpr after write vgpr: 2 wait states
ds_bpermute_b32 v5, v0, v5, offset:4               // permute edge values
ds_bpermute_b32 v6, v0, v6, offset:4               // permute edge values
	;; [unrolled: 1-line block ×4, first 2 shown]
s_waitcnt 0                                        // wait for swizzle operation
v_accvgpr_write_b32 acc56, v5                      // 
v_accvgpr_write_b32 acc120, v6                     // 
v_accvgpr_write_b32 acc184, v7                     // 
v_accvgpr_write_b32 acc248, v8                     // 
v_accvgpr_read_b32 v5, acc137                      // glvw 10 mb 0 tt1 36 r 0
v_accvgpr_read_b32 v6, acc201                      // glvw 10 mb 0 tt1 36 r 0
v_accvgpr_read_b32 v7, acc9                        // glvw 10 mb 0 tt1 36 r 0
v_accvgpr_read_b32 v8, acc73                       // glvw 10 mb 0 tt1 36 r 0
s_nop 1                                            // v_accvgpr read vgpr after write vgpr: 2 wait states
ds_bpermute_b32 v5, v0, v5, offset:4               // permute edge values
ds_bpermute_b32 v6, v0, v6, offset:4               // permute edge values
	;; [unrolled: 1-line block ×4, first 2 shown]
s_waitcnt 0                                        // wait for swizzle operation
v_accvgpr_write_b32 acc9, v5                       // 
v_accvgpr_write_b32 acc73, v6                      // 
v_accvgpr_write_b32 acc137, v7                     // 
v_accvgpr_write_b32 acc201, v8                     // 
v_accvgpr_read_b32 v5, acc153                      // glvw 10 mb 0 tt1 37 r 0
v_accvgpr_read_b32 v6, acc217                      // glvw 10 mb 0 tt1 37 r 0
v_accvgpr_read_b32 v7, acc25                       // glvw 10 mb 0 tt1 37 r 0
v_accvgpr_read_b32 v8, acc89                       // glvw 10 mb 0 tt1 37 r 0
s_nop 1                                            // v_accvgpr read vgpr after write vgpr: 2 wait states
ds_bpermute_b32 v5, v0, v5, offset:4               // permute edge values
ds_bpermute_b32 v6, v0, v6, offset:4               // permute edge values
	;; [unrolled: 1-line block ×4, first 2 shown]
s_waitcnt 0                                        // wait for swizzle operation
v_accvgpr_write_b32 acc25, v5                      // 
v_accvgpr_write_b32 acc89, v6                      // 
v_accvgpr_write_b32 acc153, v7                     // 
v_accvgpr_write_b32 acc217, v8                     // 
v_accvgpr_read_b32 v5, acc169                      // glvw 10 mb 0 tt1 38 r 0
v_accvgpr_read_b32 v6, acc233                      // glvw 10 mb 0 tt1 38 r 0
v_accvgpr_read_b32 v7, acc41                       // glvw 10 mb 0 tt1 38 r 0
v_accvgpr_read_b32 v8, acc105                      // glvw 10 mb 0 tt1 38 r 0
s_nop 1                                            // v_accvgpr read vgpr after write vgpr: 2 wait states
ds_bpermute_b32 v5, v0, v5, offset:4               // permute edge values
ds_bpermute_b32 v6, v0, v6, offset:4               // permute edge values
	;; [unrolled: 1-line block ×4, first 2 shown]
s_waitcnt 0                                        // wait for swizzle operation
v_accvgpr_write_b32 acc41, v5                      // 
v_accvgpr_write_b32 acc105, v6                     // 
v_accvgpr_write_b32 acc169, v7                     // 
v_accvgpr_write_b32 acc233, v8                     // 
v_accvgpr_read_b32 v5, acc185                      // glvw 10 mb 0 tt1 39 r 0
v_accvgpr_read_b32 v6, acc249                      // glvw 10 mb 0 tt1 39 r 0
v_accvgpr_read_b32 v7, acc57                       // glvw 10 mb 0 tt1 39 r 0
v_accvgpr_read_b32 v8, acc121                      // glvw 10 mb 0 tt1 39 r 0
s_nop 1                                            // v_accvgpr read vgpr after write vgpr: 2 wait states
ds_bpermute_b32 v5, v0, v5, offset:4               // permute edge values
ds_bpermute_b32 v6, v0, v6, offset:4               // permute edge values
	;; [unrolled: 1-line block ×4, first 2 shown]
s_waitcnt 0                                        // wait for swizzle operation
v_accvgpr_write_b32 acc57, v5                      // 
v_accvgpr_write_b32 acc121, v6                     // 
v_accvgpr_write_b32 acc185, v7                     // 
v_accvgpr_write_b32 acc249, v8                     // 
v_accvgpr_read_b32 v5, acc138                      // glvw 10 mb 0 tt1 40 r 0
v_accvgpr_read_b32 v6, acc202                      // glvw 10 mb 0 tt1 40 r 0
v_accvgpr_read_b32 v7, acc10                       // glvw 10 mb 0 tt1 40 r 0
v_accvgpr_read_b32 v8, acc74                       // glvw 10 mb 0 tt1 40 r 0
s_nop 1                                            // v_accvgpr read vgpr after write vgpr: 2 wait states
ds_bpermute_b32 v5, v0, v5, offset:4               // permute edge values
ds_bpermute_b32 v6, v0, v6, offset:4               // permute edge values
	;; [unrolled: 1-line block ×4, first 2 shown]
s_waitcnt 0                                        // wait for swizzle operation
v_accvgpr_write_b32 acc10, v5                      // 
v_accvgpr_write_b32 acc74, v6                      // 
v_accvgpr_write_b32 acc138, v7                     // 
v_accvgpr_write_b32 acc202, v8                     // 
v_accvgpr_read_b32 v5, acc154                      // glvw 10 mb 0 tt1 41 r 0
v_accvgpr_read_b32 v6, acc218                      // glvw 10 mb 0 tt1 41 r 0
v_accvgpr_read_b32 v7, acc26                       // glvw 10 mb 0 tt1 41 r 0
v_accvgpr_read_b32 v8, acc90                       // glvw 10 mb 0 tt1 41 r 0
s_nop 1                                            // v_accvgpr read vgpr after write vgpr: 2 wait states
ds_bpermute_b32 v5, v0, v5, offset:4               // permute edge values
ds_bpermute_b32 v6, v0, v6, offset:4               // permute edge values
	;; [unrolled: 1-line block ×4, first 2 shown]
s_waitcnt 0                                        // wait for swizzle operation
v_accvgpr_write_b32 acc26, v5                      // 
v_accvgpr_write_b32 acc90, v6                      // 
v_accvgpr_write_b32 acc154, v7                     // 
v_accvgpr_write_b32 acc218, v8                     // 
v_accvgpr_read_b32 v5, acc170                      // glvw 10 mb 0 tt1 42 r 0
v_accvgpr_read_b32 v6, acc234                      // glvw 10 mb 0 tt1 42 r 0
v_accvgpr_read_b32 v7, acc42                       // glvw 10 mb 0 tt1 42 r 0
v_accvgpr_read_b32 v8, acc106                      // glvw 10 mb 0 tt1 42 r 0
s_nop 1                                            // v_accvgpr read vgpr after write vgpr: 2 wait states
ds_bpermute_b32 v5, v0, v5, offset:4               // permute edge values
ds_bpermute_b32 v6, v0, v6, offset:4               // permute edge values
	;; [unrolled: 1-line block ×4, first 2 shown]
s_waitcnt 0                                        // wait for swizzle operation
v_accvgpr_write_b32 acc42, v5                      // 
v_accvgpr_write_b32 acc106, v6                     // 
v_accvgpr_write_b32 acc170, v7                     // 
v_accvgpr_write_b32 acc234, v8                     // 
v_accvgpr_read_b32 v5, acc186                      // glvw 10 mb 0 tt1 43 r 0
v_accvgpr_read_b32 v6, acc250                      // glvw 10 mb 0 tt1 43 r 0
v_accvgpr_read_b32 v7, acc58                       // glvw 10 mb 0 tt1 43 r 0
v_accvgpr_read_b32 v8, acc122                      // glvw 10 mb 0 tt1 43 r 0
s_nop 1                                            // v_accvgpr read vgpr after write vgpr: 2 wait states
ds_bpermute_b32 v5, v0, v5, offset:4               // permute edge values
ds_bpermute_b32 v6, v0, v6, offset:4               // permute edge values
	;; [unrolled: 1-line block ×4, first 2 shown]
s_waitcnt 0                                        // wait for swizzle operation
v_accvgpr_write_b32 acc58, v5                      // 
v_accvgpr_write_b32 acc122, v6                     // 
v_accvgpr_write_b32 acc186, v7                     // 
v_accvgpr_write_b32 acc250, v8                     // 
v_accvgpr_read_b32 v5, acc139                      // glvw 10 mb 0 tt1 44 r 0
v_accvgpr_read_b32 v6, acc203                      // glvw 10 mb 0 tt1 44 r 0
v_accvgpr_read_b32 v7, acc11                       // glvw 10 mb 0 tt1 44 r 0
v_accvgpr_read_b32 v8, acc75                       // glvw 10 mb 0 tt1 44 r 0
s_nop 1                                            // v_accvgpr read vgpr after write vgpr: 2 wait states
ds_bpermute_b32 v5, v0, v5, offset:4               // permute edge values
ds_bpermute_b32 v6, v0, v6, offset:4               // permute edge values
ds_bpermute_b32 v7, v0, v7, offset:8               // permute edge values
ds_bpermute_b32 v8, v0, v8, offset:8               // permute edge values
s_waitcnt 0                                        // wait for swizzle operation
v_accvgpr_write_b32 acc11, v5                      // 
v_accvgpr_write_b32 acc75, v6                      // 
v_accvgpr_write_b32 acc139, v7                     // 
v_accvgpr_write_b32 acc203, v8                     // 
v_accvgpr_read_b32 v5, acc155                      // glvw 10 mb 0 tt1 45 r 0
v_accvgpr_read_b32 v6, acc219                      // glvw 10 mb 0 tt1 45 r 0
v_accvgpr_read_b32 v7, acc27                       // glvw 10 mb 0 tt1 45 r 0
v_accvgpr_read_b32 v8, acc91                       // glvw 10 mb 0 tt1 45 r 0
s_nop 1                                            // v_accvgpr read vgpr after write vgpr: 2 wait states
ds_bpermute_b32 v5, v0, v5, offset:4               // permute edge values
ds_bpermute_b32 v6, v0, v6, offset:4               // permute edge values
	;; [unrolled: 1-line block ×4, first 2 shown]
s_waitcnt 0                                        // wait for swizzle operation
v_accvgpr_write_b32 acc27, v5                      // 
v_accvgpr_write_b32 acc91, v6                      // 
v_accvgpr_write_b32 acc155, v7                     // 
v_accvgpr_write_b32 acc219, v8                     // 
v_accvgpr_read_b32 v5, acc171                      // glvw 10 mb 0 tt1 46 r 0
v_accvgpr_read_b32 v6, acc235                      // glvw 10 mb 0 tt1 46 r 0
v_accvgpr_read_b32 v7, acc43                       // glvw 10 mb 0 tt1 46 r 0
v_accvgpr_read_b32 v8, acc107                      // glvw 10 mb 0 tt1 46 r 0
s_nop 1                                            // v_accvgpr read vgpr after write vgpr: 2 wait states
ds_bpermute_b32 v5, v0, v5, offset:4               // permute edge values
ds_bpermute_b32 v6, v0, v6, offset:4               // permute edge values
	;; [unrolled: 1-line block ×4, first 2 shown]
s_waitcnt 0                                        // wait for swizzle operation
v_accvgpr_write_b32 acc43, v5                      // 
v_accvgpr_write_b32 acc107, v6                     // 
v_accvgpr_write_b32 acc171, v7                     // 
v_accvgpr_write_b32 acc235, v8                     // 
v_accvgpr_read_b32 v5, acc187                      // glvw 10 mb 0 tt1 47 r 0
v_accvgpr_read_b32 v6, acc251                      // glvw 10 mb 0 tt1 47 r 0
v_accvgpr_read_b32 v7, acc59                       // glvw 10 mb 0 tt1 47 r 0
v_accvgpr_read_b32 v8, acc123                      // glvw 10 mb 0 tt1 47 r 0
s_nop 1                                            // v_accvgpr read vgpr after write vgpr: 2 wait states
ds_bpermute_b32 v5, v0, v5, offset:4               // permute edge values
ds_bpermute_b32 v6, v0, v6, offset:4               // permute edge values
	;; [unrolled: 1-line block ×4, first 2 shown]
s_waitcnt 0                                        // wait for swizzle operation
v_accvgpr_write_b32 acc59, v5                      // 
v_accvgpr_write_b32 acc123, v6                     // 
v_accvgpr_write_b32 acc187, v7                     // 
v_accvgpr_write_b32 acc251, v8                     // 
v_accvgpr_read_b32 v5, acc140                      // glvw 10 mb 0 tt1 48 r 0
v_accvgpr_read_b32 v6, acc204                      // glvw 10 mb 0 tt1 48 r 0
v_accvgpr_read_b32 v7, acc12                       // glvw 10 mb 0 tt1 48 r 0
v_accvgpr_read_b32 v8, acc76                       // glvw 10 mb 0 tt1 48 r 0
s_nop 1                                            // v_accvgpr read vgpr after write vgpr: 2 wait states
ds_bpermute_b32 v5, v0, v5, offset:4               // permute edge values
ds_bpermute_b32 v6, v0, v6, offset:4               // permute edge values
	;; [unrolled: 1-line block ×4, first 2 shown]
s_waitcnt 0                                        // wait for swizzle operation
v_accvgpr_write_b32 acc12, v5                      // 
v_accvgpr_write_b32 acc76, v6                      // 
v_accvgpr_write_b32 acc140, v7                     // 
v_accvgpr_write_b32 acc204, v8                     // 
v_accvgpr_read_b32 v5, acc156                      // glvw 10 mb 0 tt1 49 r 0
v_accvgpr_read_b32 v6, acc220                      // glvw 10 mb 0 tt1 49 r 0
v_accvgpr_read_b32 v7, acc28                       // glvw 10 mb 0 tt1 49 r 0
v_accvgpr_read_b32 v8, acc92                       // glvw 10 mb 0 tt1 49 r 0
s_nop 1                                            // v_accvgpr read vgpr after write vgpr: 2 wait states
ds_bpermute_b32 v5, v0, v5, offset:4               // permute edge values
ds_bpermute_b32 v6, v0, v6, offset:4               // permute edge values
	;; [unrolled: 1-line block ×4, first 2 shown]
s_waitcnt 0                                        // wait for swizzle operation
v_accvgpr_write_b32 acc28, v5                      // 
v_accvgpr_write_b32 acc92, v6                      // 
v_accvgpr_write_b32 acc156, v7                     // 
v_accvgpr_write_b32 acc220, v8                     // 
v_accvgpr_read_b32 v5, acc172                      // glvw 10 mb 0 tt1 50 r 0
v_accvgpr_read_b32 v6, acc236                      // glvw 10 mb 0 tt1 50 r 0
v_accvgpr_read_b32 v7, acc44                       // glvw 10 mb 0 tt1 50 r 0
v_accvgpr_read_b32 v8, acc108                      // glvw 10 mb 0 tt1 50 r 0
s_nop 1                                            // v_accvgpr read vgpr after write vgpr: 2 wait states
ds_bpermute_b32 v5, v0, v5, offset:4               // permute edge values
ds_bpermute_b32 v6, v0, v6, offset:4               // permute edge values
	;; [unrolled: 1-line block ×4, first 2 shown]
s_waitcnt 0                                        // wait for swizzle operation
v_accvgpr_write_b32 acc44, v5                      // 
v_accvgpr_write_b32 acc108, v6                     // 
v_accvgpr_write_b32 acc172, v7                     // 
v_accvgpr_write_b32 acc236, v8                     // 
v_accvgpr_read_b32 v5, acc188                      // glvw 10 mb 0 tt1 51 r 0
v_accvgpr_read_b32 v6, acc252                      // glvw 10 mb 0 tt1 51 r 0
v_accvgpr_read_b32 v7, acc60                       // glvw 10 mb 0 tt1 51 r 0
v_accvgpr_read_b32 v8, acc124                      // glvw 10 mb 0 tt1 51 r 0
s_nop 1                                            // v_accvgpr read vgpr after write vgpr: 2 wait states
ds_bpermute_b32 v5, v0, v5, offset:4               // permute edge values
ds_bpermute_b32 v6, v0, v6, offset:4               // permute edge values
	;; [unrolled: 1-line block ×4, first 2 shown]
s_waitcnt 0                                        // wait for swizzle operation
v_accvgpr_write_b32 acc60, v5                      // 
v_accvgpr_write_b32 acc124, v6                     // 
v_accvgpr_write_b32 acc188, v7                     // 
v_accvgpr_write_b32 acc252, v8                     // 
v_accvgpr_read_b32 v5, acc141                      // glvw 10 mb 0 tt1 52 r 0
v_accvgpr_read_b32 v6, acc205                      // glvw 10 mb 0 tt1 52 r 0
v_accvgpr_read_b32 v7, acc13                       // glvw 10 mb 0 tt1 52 r 0
v_accvgpr_read_b32 v8, acc77                       // glvw 10 mb 0 tt1 52 r 0
s_nop 1                                            // v_accvgpr read vgpr after write vgpr: 2 wait states
ds_bpermute_b32 v5, v0, v5, offset:4               // permute edge values
ds_bpermute_b32 v6, v0, v6, offset:4               // permute edge values
	;; [unrolled: 1-line block ×4, first 2 shown]
s_waitcnt 0                                        // wait for swizzle operation
v_accvgpr_write_b32 acc13, v5                      // 
v_accvgpr_write_b32 acc77, v6                      // 
v_accvgpr_write_b32 acc141, v7                     // 
v_accvgpr_write_b32 acc205, v8                     // 
v_accvgpr_read_b32 v5, acc157                      // glvw 10 mb 0 tt1 53 r 0
v_accvgpr_read_b32 v6, acc221                      // glvw 10 mb 0 tt1 53 r 0
v_accvgpr_read_b32 v7, acc29                       // glvw 10 mb 0 tt1 53 r 0
v_accvgpr_read_b32 v8, acc93                       // glvw 10 mb 0 tt1 53 r 0
s_nop 1                                            // v_accvgpr read vgpr after write vgpr: 2 wait states
ds_bpermute_b32 v5, v0, v5, offset:4               // permute edge values
ds_bpermute_b32 v6, v0, v6, offset:4               // permute edge values
	;; [unrolled: 1-line block ×4, first 2 shown]
s_waitcnt 0                                        // wait for swizzle operation
v_accvgpr_write_b32 acc29, v5                      // 
v_accvgpr_write_b32 acc93, v6                      // 
v_accvgpr_write_b32 acc157, v7                     // 
v_accvgpr_write_b32 acc221, v8                     // 
v_accvgpr_read_b32 v5, acc173                      // glvw 10 mb 0 tt1 54 r 0
v_accvgpr_read_b32 v6, acc237                      // glvw 10 mb 0 tt1 54 r 0
v_accvgpr_read_b32 v7, acc45                       // glvw 10 mb 0 tt1 54 r 0
v_accvgpr_read_b32 v8, acc109                      // glvw 10 mb 0 tt1 54 r 0
s_nop 1                                            // v_accvgpr read vgpr after write vgpr: 2 wait states
ds_bpermute_b32 v5, v0, v5, offset:4               // permute edge values
ds_bpermute_b32 v6, v0, v6, offset:4               // permute edge values
	;; [unrolled: 1-line block ×4, first 2 shown]
s_waitcnt 0                                        // wait for swizzle operation
v_accvgpr_write_b32 acc45, v5                      // 
v_accvgpr_write_b32 acc109, v6                     // 
v_accvgpr_write_b32 acc173, v7                     // 
v_accvgpr_write_b32 acc237, v8                     // 
v_accvgpr_read_b32 v5, acc189                      // glvw 10 mb 0 tt1 55 r 0
v_accvgpr_read_b32 v6, acc253                      // glvw 10 mb 0 tt1 55 r 0
v_accvgpr_read_b32 v7, acc61                       // glvw 10 mb 0 tt1 55 r 0
v_accvgpr_read_b32 v8, acc125                      // glvw 10 mb 0 tt1 55 r 0
s_nop 1                                            // v_accvgpr read vgpr after write vgpr: 2 wait states
ds_bpermute_b32 v5, v0, v5, offset:4               // permute edge values
ds_bpermute_b32 v6, v0, v6, offset:4               // permute edge values
	;; [unrolled: 1-line block ×4, first 2 shown]
s_waitcnt 0                                        // wait for swizzle operation
v_accvgpr_write_b32 acc61, v5                      // 
v_accvgpr_write_b32 acc125, v6                     // 
v_accvgpr_write_b32 acc189, v7                     // 
v_accvgpr_write_b32 acc253, v8                     // 
v_accvgpr_read_b32 v5, acc142                      // glvw 10 mb 0 tt1 56 r 0
v_accvgpr_read_b32 v6, acc206                      // glvw 10 mb 0 tt1 56 r 0
v_accvgpr_read_b32 v7, acc14                       // glvw 10 mb 0 tt1 56 r 0
v_accvgpr_read_b32 v8, acc78                       // glvw 10 mb 0 tt1 56 r 0
s_nop 1                                            // v_accvgpr read vgpr after write vgpr: 2 wait states
ds_bpermute_b32 v5, v0, v5, offset:4               // permute edge values
ds_bpermute_b32 v6, v0, v6, offset:4               // permute edge values
	;; [unrolled: 1-line block ×4, first 2 shown]
s_waitcnt 0                                        // wait for swizzle operation
v_accvgpr_write_b32 acc14, v5                      // 
v_accvgpr_write_b32 acc78, v6                      // 
v_accvgpr_write_b32 acc142, v7                     // 
v_accvgpr_write_b32 acc206, v8                     // 
v_accvgpr_read_b32 v5, acc158                      // glvw 10 mb 0 tt1 57 r 0
v_accvgpr_read_b32 v6, acc222                      // glvw 10 mb 0 tt1 57 r 0
v_accvgpr_read_b32 v7, acc30                       // glvw 10 mb 0 tt1 57 r 0
v_accvgpr_read_b32 v8, acc94                       // glvw 10 mb 0 tt1 57 r 0
s_nop 1                                            // v_accvgpr read vgpr after write vgpr: 2 wait states
ds_bpermute_b32 v5, v0, v5, offset:4               // permute edge values
ds_bpermute_b32 v6, v0, v6, offset:4               // permute edge values
	;; [unrolled: 1-line block ×4, first 2 shown]
s_waitcnt 0                                        // wait for swizzle operation
v_accvgpr_write_b32 acc30, v5                      // 
v_accvgpr_write_b32 acc94, v6                      // 
v_accvgpr_write_b32 acc158, v7                     // 
v_accvgpr_write_b32 acc222, v8                     // 
v_accvgpr_read_b32 v5, acc174                      // glvw 10 mb 0 tt1 58 r 0
v_accvgpr_read_b32 v6, acc238                      // glvw 10 mb 0 tt1 58 r 0
v_accvgpr_read_b32 v7, acc46                       // glvw 10 mb 0 tt1 58 r 0
v_accvgpr_read_b32 v8, acc110                      // glvw 10 mb 0 tt1 58 r 0
s_nop 1                                            // v_accvgpr read vgpr after write vgpr: 2 wait states
ds_bpermute_b32 v5, v0, v5, offset:4               // permute edge values
ds_bpermute_b32 v6, v0, v6, offset:4               // permute edge values
	;; [unrolled: 1-line block ×4, first 2 shown]
s_waitcnt 0                                        // wait for swizzle operation
v_accvgpr_write_b32 acc46, v5                      // 
v_accvgpr_write_b32 acc110, v6                     // 
v_accvgpr_write_b32 acc174, v7                     // 
v_accvgpr_write_b32 acc238, v8                     // 
v_accvgpr_read_b32 v5, acc190                      // glvw 10 mb 0 tt1 59 r 0
v_accvgpr_read_b32 v6, acc254                      // glvw 10 mb 0 tt1 59 r 0
v_accvgpr_read_b32 v7, acc62                       // glvw 10 mb 0 tt1 59 r 0
v_accvgpr_read_b32 v8, acc126                      // glvw 10 mb 0 tt1 59 r 0
s_nop 1                                            // v_accvgpr read vgpr after write vgpr: 2 wait states
ds_bpermute_b32 v5, v0, v5, offset:4               // permute edge values
ds_bpermute_b32 v6, v0, v6, offset:4               // permute edge values
	;; [unrolled: 1-line block ×4, first 2 shown]
s_waitcnt 0                                        // wait for swizzle operation
v_accvgpr_write_b32 acc62, v5                      // 
v_accvgpr_write_b32 acc126, v6                     // 
v_accvgpr_write_b32 acc190, v7                     // 
v_accvgpr_write_b32 acc254, v8                     // 
v_accvgpr_read_b32 v5, acc143                      // glvw 10 mb 0 tt1 60 r 0
v_accvgpr_read_b32 v6, acc207                      // glvw 10 mb 0 tt1 60 r 0
v_accvgpr_read_b32 v7, acc15                       // glvw 10 mb 0 tt1 60 r 0
v_accvgpr_read_b32 v8, acc79                       // glvw 10 mb 0 tt1 60 r 0
s_nop 1                                            // v_accvgpr read vgpr after write vgpr: 2 wait states
ds_bpermute_b32 v5, v0, v5, offset:4               // permute edge values
ds_bpermute_b32 v6, v0, v6, offset:4               // permute edge values
	;; [unrolled: 1-line block ×4, first 2 shown]
s_waitcnt 0                                        // wait for swizzle operation
v_accvgpr_write_b32 acc15, v5                      // 
v_accvgpr_write_b32 acc79, v6                      // 
v_accvgpr_write_b32 acc143, v7                     // 
v_accvgpr_write_b32 acc207, v8                     // 
v_accvgpr_read_b32 v5, acc159                      // glvw 10 mb 0 tt1 61 r 0
v_accvgpr_read_b32 v6, acc223                      // glvw 10 mb 0 tt1 61 r 0
v_accvgpr_read_b32 v7, acc31                       // glvw 10 mb 0 tt1 61 r 0
v_accvgpr_read_b32 v8, acc95                       // glvw 10 mb 0 tt1 61 r 0
s_nop 1                                            // v_accvgpr read vgpr after write vgpr: 2 wait states
ds_bpermute_b32 v5, v0, v5, offset:4               // permute edge values
ds_bpermute_b32 v6, v0, v6, offset:4               // permute edge values
	;; [unrolled: 1-line block ×4, first 2 shown]
s_waitcnt 0                                        // wait for swizzle operation
v_accvgpr_write_b32 acc31, v5                      // 
v_accvgpr_write_b32 acc95, v6                      // 
v_accvgpr_write_b32 acc159, v7                     // 
v_accvgpr_write_b32 acc223, v8                     // 
v_accvgpr_read_b32 v5, acc175                      // glvw 10 mb 0 tt1 62 r 0
v_accvgpr_read_b32 v6, acc239                      // glvw 10 mb 0 tt1 62 r 0
v_accvgpr_read_b32 v7, acc47                       // glvw 10 mb 0 tt1 62 r 0
v_accvgpr_read_b32 v8, acc111                      // glvw 10 mb 0 tt1 62 r 0
s_nop 1                                            // v_accvgpr read vgpr after write vgpr: 2 wait states
ds_bpermute_b32 v5, v0, v5, offset:4               // permute edge values
ds_bpermute_b32 v6, v0, v6, offset:4               // permute edge values
	;; [unrolled: 1-line block ×4, first 2 shown]
s_waitcnt 0                                        // wait for swizzle operation
v_accvgpr_write_b32 acc47, v5                      // 
v_accvgpr_write_b32 acc111, v6                     // 
v_accvgpr_write_b32 acc175, v7                     // 
v_accvgpr_write_b32 acc239, v8                     // 
v_accvgpr_read_b32 v5, acc191                      // glvw 10 mb 0 tt1 63 r 0
v_accvgpr_read_b32 v6, acc255                      // glvw 10 mb 0 tt1 63 r 0
v_accvgpr_read_b32 v7, acc63                       // glvw 10 mb 0 tt1 63 r 0
v_accvgpr_read_b32 v8, acc127                      // glvw 10 mb 0 tt1 63 r 0
s_nop 1                                            // v_accvgpr read vgpr after write vgpr: 2 wait states
ds_bpermute_b32 v5, v0, v5, offset:4               // permute edge values
ds_bpermute_b32 v6, v0, v6, offset:4               // permute edge values
	;; [unrolled: 1-line block ×4, first 2 shown]
s_waitcnt 0                                        // wait for swizzle operation
v_accvgpr_write_b32 acc63, v5                      // 
v_accvgpr_write_b32 acc127, v6                     // 
v_accvgpr_write_b32 acc191, v7                     // 
v_accvgpr_write_b32 acc255, v8                     // 
s_mov_b64 s[42:43], 0xFFFFFFFFFFFFFFFF             // to restore all threads active
s_or_saveexec_b64 vcc, s[42:43]                    // all threads active
s_branch label_0222                                // done shifting


/******************************************/
/* shift d1 r=11 mb=0 vw0                 */
/******************************************/
label_0209: // r11 mb0 vw0 
s_mov_b32 s42, 0                                   // 
_v_cmpx_eq_u32 s[42:43], v4, s42                   // is thread in edge glvw region
v_and_b32 v0, 63, v[vgprSerial]                    // permute register between threads
v_lshlrev_b32 v0, 2, v0                            // permute register between threads
v_accvgpr_read_b32 v5, acc64                       // glvw 11 mb 0 tt1 0 r 0
v_accvgpr_read_b32 v6, acc128                      // glvw 11 mb 0 tt1 0 r 0
v_accvgpr_read_b32 v7, acc192                      // glvw 11 mb 0 tt1 0 r 0
v_accvgpr_read_b32 v8, acc0                        // glvw 11 mb 0 tt1 0 r 0
s_nop 1                                            // v_accvgpr read vgpr after write vgpr: 2 wait states
ds_bpermute_b32 v5, v0, v5, offset:4               // permute edge values
ds_bpermute_b32 v6, v0, v6, offset:4               // permute edge values
	;; [unrolled: 1-line block ×4, first 2 shown]
s_waitcnt 0                                        // wait for swizzle operation
v_accvgpr_write_b32 acc0, v5                       // 
v_accvgpr_write_b32 acc64, v6                      // 
v_accvgpr_write_b32 acc128, v7                     // 
v_accvgpr_write_b32 acc192, v8                     // 
v_accvgpr_read_b32 v5, acc80                       // glvw 11 mb 0 tt1 1 r 0
v_accvgpr_read_b32 v6, acc144                      // glvw 11 mb 0 tt1 1 r 0
v_accvgpr_read_b32 v7, acc208                      // glvw 11 mb 0 tt1 1 r 0
v_accvgpr_read_b32 v8, acc16                       // glvw 11 mb 0 tt1 1 r 0
s_nop 1                                            // v_accvgpr read vgpr after write vgpr: 2 wait states
ds_bpermute_b32 v5, v0, v5, offset:4               // permute edge values
ds_bpermute_b32 v6, v0, v6, offset:4               // permute edge values
	;; [unrolled: 1-line block ×4, first 2 shown]
s_waitcnt 0                                        // wait for swizzle operation
v_accvgpr_write_b32 acc16, v5                      // 
v_accvgpr_write_b32 acc80, v6                      // 
v_accvgpr_write_b32 acc144, v7                     // 
v_accvgpr_write_b32 acc208, v8                     // 
v_accvgpr_read_b32 v5, acc96                       // glvw 11 mb 0 tt1 2 r 0
v_accvgpr_read_b32 v6, acc160                      // glvw 11 mb 0 tt1 2 r 0
v_accvgpr_read_b32 v7, acc224                      // glvw 11 mb 0 tt1 2 r 0
v_accvgpr_read_b32 v8, acc32                       // glvw 11 mb 0 tt1 2 r 0
s_nop 1                                            // v_accvgpr read vgpr after write vgpr: 2 wait states
ds_bpermute_b32 v5, v0, v5, offset:4               // permute edge values
ds_bpermute_b32 v6, v0, v6, offset:4               // permute edge values
	;; [unrolled: 1-line block ×4, first 2 shown]
s_waitcnt 0                                        // wait for swizzle operation
v_accvgpr_write_b32 acc32, v5                      // 
v_accvgpr_write_b32 acc96, v6                      // 
v_accvgpr_write_b32 acc160, v7                     // 
v_accvgpr_write_b32 acc224, v8                     // 
v_accvgpr_read_b32 v5, acc112                      // glvw 11 mb 0 tt1 3 r 0
v_accvgpr_read_b32 v6, acc176                      // glvw 11 mb 0 tt1 3 r 0
v_accvgpr_read_b32 v7, acc240                      // glvw 11 mb 0 tt1 3 r 0
v_accvgpr_read_b32 v8, acc48                       // glvw 11 mb 0 tt1 3 r 0
s_nop 1                                            // v_accvgpr read vgpr after write vgpr: 2 wait states
ds_bpermute_b32 v5, v0, v5, offset:4               // permute edge values
ds_bpermute_b32 v6, v0, v6, offset:4               // permute edge values
	;; [unrolled: 1-line block ×4, first 2 shown]
s_waitcnt 0                                        // wait for swizzle operation
v_accvgpr_write_b32 acc48, v5                      // 
v_accvgpr_write_b32 acc112, v6                     // 
v_accvgpr_write_b32 acc176, v7                     // 
v_accvgpr_write_b32 acc240, v8                     // 
v_accvgpr_read_b32 v5, acc65                       // glvw 11 mb 0 tt1 4 r 0
v_accvgpr_read_b32 v6, acc129                      // glvw 11 mb 0 tt1 4 r 0
v_accvgpr_read_b32 v7, acc193                      // glvw 11 mb 0 tt1 4 r 0
v_accvgpr_read_b32 v8, acc1                        // glvw 11 mb 0 tt1 4 r 0
s_nop 1                                            // v_accvgpr read vgpr after write vgpr: 2 wait states
ds_bpermute_b32 v5, v0, v5, offset:4               // permute edge values
ds_bpermute_b32 v6, v0, v6, offset:4               // permute edge values
	;; [unrolled: 1-line block ×4, first 2 shown]
s_waitcnt 0                                        // wait for swizzle operation
v_accvgpr_write_b32 acc1, v5                       // 
v_accvgpr_write_b32 acc65, v6                      // 
v_accvgpr_write_b32 acc129, v7                     // 
v_accvgpr_write_b32 acc193, v8                     // 
v_accvgpr_read_b32 v5, acc81                       // glvw 11 mb 0 tt1 5 r 0
v_accvgpr_read_b32 v6, acc145                      // glvw 11 mb 0 tt1 5 r 0
v_accvgpr_read_b32 v7, acc209                      // glvw 11 mb 0 tt1 5 r 0
v_accvgpr_read_b32 v8, acc17                       // glvw 11 mb 0 tt1 5 r 0
s_nop 1                                            // v_accvgpr read vgpr after write vgpr: 2 wait states
ds_bpermute_b32 v5, v0, v5, offset:4               // permute edge values
ds_bpermute_b32 v6, v0, v6, offset:4               // permute edge values
	;; [unrolled: 1-line block ×4, first 2 shown]
s_waitcnt 0                                        // wait for swizzle operation
v_accvgpr_write_b32 acc17, v5                      // 
v_accvgpr_write_b32 acc81, v6                      // 
v_accvgpr_write_b32 acc145, v7                     // 
v_accvgpr_write_b32 acc209, v8                     // 
v_accvgpr_read_b32 v5, acc97                       // glvw 11 mb 0 tt1 6 r 0
v_accvgpr_read_b32 v6, acc161                      // glvw 11 mb 0 tt1 6 r 0
v_accvgpr_read_b32 v7, acc225                      // glvw 11 mb 0 tt1 6 r 0
v_accvgpr_read_b32 v8, acc33                       // glvw 11 mb 0 tt1 6 r 0
s_nop 1                                            // v_accvgpr read vgpr after write vgpr: 2 wait states
ds_bpermute_b32 v5, v0, v5, offset:4               // permute edge values
ds_bpermute_b32 v6, v0, v6, offset:4               // permute edge values
	;; [unrolled: 1-line block ×4, first 2 shown]
s_waitcnt 0                                        // wait for swizzle operation
v_accvgpr_write_b32 acc33, v5                      // 
v_accvgpr_write_b32 acc97, v6                      // 
v_accvgpr_write_b32 acc161, v7                     // 
v_accvgpr_write_b32 acc225, v8                     // 
v_accvgpr_read_b32 v5, acc113                      // glvw 11 mb 0 tt1 7 r 0
v_accvgpr_read_b32 v6, acc177                      // glvw 11 mb 0 tt1 7 r 0
v_accvgpr_read_b32 v7, acc241                      // glvw 11 mb 0 tt1 7 r 0
v_accvgpr_read_b32 v8, acc49                       // glvw 11 mb 0 tt1 7 r 0
s_nop 1                                            // v_accvgpr read vgpr after write vgpr: 2 wait states
ds_bpermute_b32 v5, v0, v5, offset:4               // permute edge values
ds_bpermute_b32 v6, v0, v6, offset:4               // permute edge values
	;; [unrolled: 1-line block ×4, first 2 shown]
s_waitcnt 0                                        // wait for swizzle operation
v_accvgpr_write_b32 acc49, v5                      // 
v_accvgpr_write_b32 acc113, v6                     // 
v_accvgpr_write_b32 acc177, v7                     // 
v_accvgpr_write_b32 acc241, v8                     // 
v_accvgpr_read_b32 v5, acc66                       // glvw 11 mb 0 tt1 8 r 0
v_accvgpr_read_b32 v6, acc130                      // glvw 11 mb 0 tt1 8 r 0
v_accvgpr_read_b32 v7, acc194                      // glvw 11 mb 0 tt1 8 r 0
v_accvgpr_read_b32 v8, acc2                        // glvw 11 mb 0 tt1 8 r 0
s_nop 1                                            // v_accvgpr read vgpr after write vgpr: 2 wait states
ds_bpermute_b32 v5, v0, v5, offset:4               // permute edge values
ds_bpermute_b32 v6, v0, v6, offset:4               // permute edge values
	;; [unrolled: 1-line block ×4, first 2 shown]
s_waitcnt 0                                        // wait for swizzle operation
v_accvgpr_write_b32 acc2, v5                       // 
v_accvgpr_write_b32 acc66, v6                      // 
v_accvgpr_write_b32 acc130, v7                     // 
v_accvgpr_write_b32 acc194, v8                     // 
v_accvgpr_read_b32 v5, acc82                       // glvw 11 mb 0 tt1 9 r 0
v_accvgpr_read_b32 v6, acc146                      // glvw 11 mb 0 tt1 9 r 0
v_accvgpr_read_b32 v7, acc210                      // glvw 11 mb 0 tt1 9 r 0
v_accvgpr_read_b32 v8, acc18                       // glvw 11 mb 0 tt1 9 r 0
s_nop 1                                            // v_accvgpr read vgpr after write vgpr: 2 wait states
ds_bpermute_b32 v5, v0, v5, offset:4               // permute edge values
ds_bpermute_b32 v6, v0, v6, offset:4               // permute edge values
	;; [unrolled: 1-line block ×4, first 2 shown]
s_waitcnt 0                                        // wait for swizzle operation
v_accvgpr_write_b32 acc18, v5                      // 
v_accvgpr_write_b32 acc82, v6                      // 
v_accvgpr_write_b32 acc146, v7                     // 
v_accvgpr_write_b32 acc210, v8                     // 
v_accvgpr_read_b32 v5, acc98                       // glvw 11 mb 0 tt1 10 r 0
v_accvgpr_read_b32 v6, acc162                      // glvw 11 mb 0 tt1 10 r 0
v_accvgpr_read_b32 v7, acc226                      // glvw 11 mb 0 tt1 10 r 0
v_accvgpr_read_b32 v8, acc34                       // glvw 11 mb 0 tt1 10 r 0
s_nop 1                                            // v_accvgpr read vgpr after write vgpr: 2 wait states
ds_bpermute_b32 v5, v0, v5, offset:4               // permute edge values
ds_bpermute_b32 v6, v0, v6, offset:4               // permute edge values
	;; [unrolled: 1-line block ×4, first 2 shown]
s_waitcnt 0                                        // wait for swizzle operation
v_accvgpr_write_b32 acc34, v5                      // 
v_accvgpr_write_b32 acc98, v6                      // 
v_accvgpr_write_b32 acc162, v7                     // 
v_accvgpr_write_b32 acc226, v8                     // 
v_accvgpr_read_b32 v5, acc114                      // glvw 11 mb 0 tt1 11 r 0
v_accvgpr_read_b32 v6, acc178                      // glvw 11 mb 0 tt1 11 r 0
v_accvgpr_read_b32 v7, acc242                      // glvw 11 mb 0 tt1 11 r 0
v_accvgpr_read_b32 v8, acc50                       // glvw 11 mb 0 tt1 11 r 0
s_nop 1                                            // v_accvgpr read vgpr after write vgpr: 2 wait states
ds_bpermute_b32 v5, v0, v5, offset:4               // permute edge values
ds_bpermute_b32 v6, v0, v6, offset:4               // permute edge values
	;; [unrolled: 1-line block ×4, first 2 shown]
s_waitcnt 0                                        // wait for swizzle operation
v_accvgpr_write_b32 acc50, v5                      // 
v_accvgpr_write_b32 acc114, v6                     // 
v_accvgpr_write_b32 acc178, v7                     // 
v_accvgpr_write_b32 acc242, v8                     // 
v_accvgpr_read_b32 v5, acc67                       // glvw 11 mb 0 tt1 12 r 0
v_accvgpr_read_b32 v6, acc131                      // glvw 11 mb 0 tt1 12 r 0
v_accvgpr_read_b32 v7, acc195                      // glvw 11 mb 0 tt1 12 r 0
v_accvgpr_read_b32 v8, acc3                        // glvw 11 mb 0 tt1 12 r 0
s_nop 1                                            // v_accvgpr read vgpr after write vgpr: 2 wait states
ds_bpermute_b32 v5, v0, v5, offset:4               // permute edge values
ds_bpermute_b32 v6, v0, v6, offset:4               // permute edge values
	;; [unrolled: 1-line block ×4, first 2 shown]
s_waitcnt 0                                        // wait for swizzle operation
v_accvgpr_write_b32 acc3, v5                       // 
v_accvgpr_write_b32 acc67, v6                      // 
v_accvgpr_write_b32 acc131, v7                     // 
v_accvgpr_write_b32 acc195, v8                     // 
v_accvgpr_read_b32 v5, acc83                       // glvw 11 mb 0 tt1 13 r 0
v_accvgpr_read_b32 v6, acc147                      // glvw 11 mb 0 tt1 13 r 0
v_accvgpr_read_b32 v7, acc211                      // glvw 11 mb 0 tt1 13 r 0
v_accvgpr_read_b32 v8, acc19                       // glvw 11 mb 0 tt1 13 r 0
s_nop 1                                            // v_accvgpr read vgpr after write vgpr: 2 wait states
ds_bpermute_b32 v5, v0, v5, offset:4               // permute edge values
ds_bpermute_b32 v6, v0, v6, offset:4               // permute edge values
	;; [unrolled: 1-line block ×4, first 2 shown]
s_waitcnt 0                                        // wait for swizzle operation
v_accvgpr_write_b32 acc19, v5                      // 
v_accvgpr_write_b32 acc83, v6                      // 
v_accvgpr_write_b32 acc147, v7                     // 
v_accvgpr_write_b32 acc211, v8                     // 
v_accvgpr_read_b32 v5, acc99                       // glvw 11 mb 0 tt1 14 r 0
v_accvgpr_read_b32 v6, acc163                      // glvw 11 mb 0 tt1 14 r 0
v_accvgpr_read_b32 v7, acc227                      // glvw 11 mb 0 tt1 14 r 0
v_accvgpr_read_b32 v8, acc35                       // glvw 11 mb 0 tt1 14 r 0
s_nop 1                                            // v_accvgpr read vgpr after write vgpr: 2 wait states
ds_bpermute_b32 v5, v0, v5, offset:4               // permute edge values
ds_bpermute_b32 v6, v0, v6, offset:4               // permute edge values
ds_bpermute_b32 v7, v0, v7, offset:4               // permute edge values
ds_bpermute_b32 v8, v0, v8, offset:8               // permute edge values
s_waitcnt 0                                        // wait for swizzle operation
v_accvgpr_write_b32 acc35, v5                      // 
v_accvgpr_write_b32 acc99, v6                      // 
v_accvgpr_write_b32 acc163, v7                     // 
v_accvgpr_write_b32 acc227, v8                     // 
v_accvgpr_read_b32 v5, acc115                      // glvw 11 mb 0 tt1 15 r 0
v_accvgpr_read_b32 v6, acc179                      // glvw 11 mb 0 tt1 15 r 0
v_accvgpr_read_b32 v7, acc243                      // glvw 11 mb 0 tt1 15 r 0
v_accvgpr_read_b32 v8, acc51                       // glvw 11 mb 0 tt1 15 r 0
s_nop 1                                            // v_accvgpr read vgpr after write vgpr: 2 wait states
ds_bpermute_b32 v5, v0, v5, offset:4               // permute edge values
ds_bpermute_b32 v6, v0, v6, offset:4               // permute edge values
	;; [unrolled: 1-line block ×4, first 2 shown]
s_waitcnt 0                                        // wait for swizzle operation
v_accvgpr_write_b32 acc51, v5                      // 
v_accvgpr_write_b32 acc115, v6                     // 
v_accvgpr_write_b32 acc179, v7                     // 
v_accvgpr_write_b32 acc243, v8                     // 
v_accvgpr_read_b32 v5, acc68                       // glvw 11 mb 0 tt1 16 r 0
v_accvgpr_read_b32 v6, acc132                      // glvw 11 mb 0 tt1 16 r 0
v_accvgpr_read_b32 v7, acc196                      // glvw 11 mb 0 tt1 16 r 0
v_accvgpr_read_b32 v8, acc4                        // glvw 11 mb 0 tt1 16 r 0
s_nop 1                                            // v_accvgpr read vgpr after write vgpr: 2 wait states
ds_bpermute_b32 v5, v0, v5, offset:4               // permute edge values
ds_bpermute_b32 v6, v0, v6, offset:4               // permute edge values
	;; [unrolled: 1-line block ×4, first 2 shown]
s_waitcnt 0                                        // wait for swizzle operation
v_accvgpr_write_b32 acc4, v5                       // 
v_accvgpr_write_b32 acc68, v6                      // 
v_accvgpr_write_b32 acc132, v7                     // 
v_accvgpr_write_b32 acc196, v8                     // 
v_accvgpr_read_b32 v5, acc84                       // glvw 11 mb 0 tt1 17 r 0
v_accvgpr_read_b32 v6, acc148                      // glvw 11 mb 0 tt1 17 r 0
v_accvgpr_read_b32 v7, acc212                      // glvw 11 mb 0 tt1 17 r 0
v_accvgpr_read_b32 v8, acc20                       // glvw 11 mb 0 tt1 17 r 0
s_nop 1                                            // v_accvgpr read vgpr after write vgpr: 2 wait states
ds_bpermute_b32 v5, v0, v5, offset:4               // permute edge values
ds_bpermute_b32 v6, v0, v6, offset:4               // permute edge values
	;; [unrolled: 1-line block ×4, first 2 shown]
s_waitcnt 0                                        // wait for swizzle operation
v_accvgpr_write_b32 acc20, v5                      // 
v_accvgpr_write_b32 acc84, v6                      // 
v_accvgpr_write_b32 acc148, v7                     // 
v_accvgpr_write_b32 acc212, v8                     // 
v_accvgpr_read_b32 v5, acc100                      // glvw 11 mb 0 tt1 18 r 0
v_accvgpr_read_b32 v6, acc164                      // glvw 11 mb 0 tt1 18 r 0
v_accvgpr_read_b32 v7, acc228                      // glvw 11 mb 0 tt1 18 r 0
v_accvgpr_read_b32 v8, acc36                       // glvw 11 mb 0 tt1 18 r 0
s_nop 1                                            // v_accvgpr read vgpr after write vgpr: 2 wait states
ds_bpermute_b32 v5, v0, v5, offset:4               // permute edge values
ds_bpermute_b32 v6, v0, v6, offset:4               // permute edge values
	;; [unrolled: 1-line block ×4, first 2 shown]
s_waitcnt 0                                        // wait for swizzle operation
v_accvgpr_write_b32 acc36, v5                      // 
v_accvgpr_write_b32 acc100, v6                     // 
v_accvgpr_write_b32 acc164, v7                     // 
v_accvgpr_write_b32 acc228, v8                     // 
v_accvgpr_read_b32 v5, acc116                      // glvw 11 mb 0 tt1 19 r 0
v_accvgpr_read_b32 v6, acc180                      // glvw 11 mb 0 tt1 19 r 0
v_accvgpr_read_b32 v7, acc244                      // glvw 11 mb 0 tt1 19 r 0
v_accvgpr_read_b32 v8, acc52                       // glvw 11 mb 0 tt1 19 r 0
s_nop 1                                            // v_accvgpr read vgpr after write vgpr: 2 wait states
ds_bpermute_b32 v5, v0, v5, offset:4               // permute edge values
ds_bpermute_b32 v6, v0, v6, offset:4               // permute edge values
	;; [unrolled: 1-line block ×4, first 2 shown]
s_waitcnt 0                                        // wait for swizzle operation
v_accvgpr_write_b32 acc52, v5                      // 
v_accvgpr_write_b32 acc116, v6                     // 
v_accvgpr_write_b32 acc180, v7                     // 
v_accvgpr_write_b32 acc244, v8                     // 
v_accvgpr_read_b32 v5, acc69                       // glvw 11 mb 0 tt1 20 r 0
v_accvgpr_read_b32 v6, acc133                      // glvw 11 mb 0 tt1 20 r 0
v_accvgpr_read_b32 v7, acc197                      // glvw 11 mb 0 tt1 20 r 0
v_accvgpr_read_b32 v8, acc5                        // glvw 11 mb 0 tt1 20 r 0
s_nop 1                                            // v_accvgpr read vgpr after write vgpr: 2 wait states
ds_bpermute_b32 v5, v0, v5, offset:4               // permute edge values
ds_bpermute_b32 v6, v0, v6, offset:4               // permute edge values
	;; [unrolled: 1-line block ×4, first 2 shown]
s_waitcnt 0                                        // wait for swizzle operation
v_accvgpr_write_b32 acc5, v5                       // 
v_accvgpr_write_b32 acc69, v6                      // 
v_accvgpr_write_b32 acc133, v7                     // 
v_accvgpr_write_b32 acc197, v8                     // 
v_accvgpr_read_b32 v5, acc85                       // glvw 11 mb 0 tt1 21 r 0
v_accvgpr_read_b32 v6, acc149                      // glvw 11 mb 0 tt1 21 r 0
v_accvgpr_read_b32 v7, acc213                      // glvw 11 mb 0 tt1 21 r 0
v_accvgpr_read_b32 v8, acc21                       // glvw 11 mb 0 tt1 21 r 0
s_nop 1                                            // v_accvgpr read vgpr after write vgpr: 2 wait states
ds_bpermute_b32 v5, v0, v5, offset:4               // permute edge values
ds_bpermute_b32 v6, v0, v6, offset:4               // permute edge values
	;; [unrolled: 1-line block ×4, first 2 shown]
s_waitcnt 0                                        // wait for swizzle operation
v_accvgpr_write_b32 acc21, v5                      // 
v_accvgpr_write_b32 acc85, v6                      // 
v_accvgpr_write_b32 acc149, v7                     // 
v_accvgpr_write_b32 acc213, v8                     // 
v_accvgpr_read_b32 v5, acc101                      // glvw 11 mb 0 tt1 22 r 0
v_accvgpr_read_b32 v6, acc165                      // glvw 11 mb 0 tt1 22 r 0
v_accvgpr_read_b32 v7, acc229                      // glvw 11 mb 0 tt1 22 r 0
v_accvgpr_read_b32 v8, acc37                       // glvw 11 mb 0 tt1 22 r 0
s_nop 1                                            // v_accvgpr read vgpr after write vgpr: 2 wait states
ds_bpermute_b32 v5, v0, v5, offset:4               // permute edge values
ds_bpermute_b32 v6, v0, v6, offset:4               // permute edge values
	;; [unrolled: 1-line block ×4, first 2 shown]
s_waitcnt 0                                        // wait for swizzle operation
v_accvgpr_write_b32 acc37, v5                      // 
v_accvgpr_write_b32 acc101, v6                     // 
v_accvgpr_write_b32 acc165, v7                     // 
v_accvgpr_write_b32 acc229, v8                     // 
v_accvgpr_read_b32 v5, acc117                      // glvw 11 mb 0 tt1 23 r 0
v_accvgpr_read_b32 v6, acc181                      // glvw 11 mb 0 tt1 23 r 0
v_accvgpr_read_b32 v7, acc245                      // glvw 11 mb 0 tt1 23 r 0
v_accvgpr_read_b32 v8, acc53                       // glvw 11 mb 0 tt1 23 r 0
s_nop 1                                            // v_accvgpr read vgpr after write vgpr: 2 wait states
ds_bpermute_b32 v5, v0, v5, offset:4               // permute edge values
ds_bpermute_b32 v6, v0, v6, offset:4               // permute edge values
	;; [unrolled: 1-line block ×4, first 2 shown]
s_waitcnt 0                                        // wait for swizzle operation
v_accvgpr_write_b32 acc53, v5                      // 
v_accvgpr_write_b32 acc117, v6                     // 
v_accvgpr_write_b32 acc181, v7                     // 
v_accvgpr_write_b32 acc245, v8                     // 
v_accvgpr_read_b32 v5, acc70                       // glvw 11 mb 0 tt1 24 r 0
v_accvgpr_read_b32 v6, acc134                      // glvw 11 mb 0 tt1 24 r 0
v_accvgpr_read_b32 v7, acc198                      // glvw 11 mb 0 tt1 24 r 0
v_accvgpr_read_b32 v8, acc6                        // glvw 11 mb 0 tt1 24 r 0
s_nop 1                                            // v_accvgpr read vgpr after write vgpr: 2 wait states
ds_bpermute_b32 v5, v0, v5, offset:4               // permute edge values
ds_bpermute_b32 v6, v0, v6, offset:4               // permute edge values
	;; [unrolled: 1-line block ×4, first 2 shown]
s_waitcnt 0                                        // wait for swizzle operation
v_accvgpr_write_b32 acc6, v5                       // 
v_accvgpr_write_b32 acc70, v6                      // 
v_accvgpr_write_b32 acc134, v7                     // 
v_accvgpr_write_b32 acc198, v8                     // 
v_accvgpr_read_b32 v5, acc86                       // glvw 11 mb 0 tt1 25 r 0
v_accvgpr_read_b32 v6, acc150                      // glvw 11 mb 0 tt1 25 r 0
v_accvgpr_read_b32 v7, acc214                      // glvw 11 mb 0 tt1 25 r 0
v_accvgpr_read_b32 v8, acc22                       // glvw 11 mb 0 tt1 25 r 0
s_nop 1                                            // v_accvgpr read vgpr after write vgpr: 2 wait states
ds_bpermute_b32 v5, v0, v5, offset:4               // permute edge values
ds_bpermute_b32 v6, v0, v6, offset:4               // permute edge values
	;; [unrolled: 1-line block ×4, first 2 shown]
s_waitcnt 0                                        // wait for swizzle operation
v_accvgpr_write_b32 acc22, v5                      // 
v_accvgpr_write_b32 acc86, v6                      // 
v_accvgpr_write_b32 acc150, v7                     // 
v_accvgpr_write_b32 acc214, v8                     // 
v_accvgpr_read_b32 v5, acc102                      // glvw 11 mb 0 tt1 26 r 0
v_accvgpr_read_b32 v6, acc166                      // glvw 11 mb 0 tt1 26 r 0
v_accvgpr_read_b32 v7, acc230                      // glvw 11 mb 0 tt1 26 r 0
v_accvgpr_read_b32 v8, acc38                       // glvw 11 mb 0 tt1 26 r 0
s_nop 1                                            // v_accvgpr read vgpr after write vgpr: 2 wait states
ds_bpermute_b32 v5, v0, v5, offset:4               // permute edge values
ds_bpermute_b32 v6, v0, v6, offset:4               // permute edge values
	;; [unrolled: 1-line block ×4, first 2 shown]
s_waitcnt 0                                        // wait for swizzle operation
v_accvgpr_write_b32 acc38, v5                      // 
v_accvgpr_write_b32 acc102, v6                     // 
v_accvgpr_write_b32 acc166, v7                     // 
v_accvgpr_write_b32 acc230, v8                     // 
v_accvgpr_read_b32 v5, acc118                      // glvw 11 mb 0 tt1 27 r 0
v_accvgpr_read_b32 v6, acc182                      // glvw 11 mb 0 tt1 27 r 0
v_accvgpr_read_b32 v7, acc246                      // glvw 11 mb 0 tt1 27 r 0
v_accvgpr_read_b32 v8, acc54                       // glvw 11 mb 0 tt1 27 r 0
s_nop 1                                            // v_accvgpr read vgpr after write vgpr: 2 wait states
ds_bpermute_b32 v5, v0, v5, offset:4               // permute edge values
ds_bpermute_b32 v6, v0, v6, offset:4               // permute edge values
	;; [unrolled: 1-line block ×4, first 2 shown]
s_waitcnt 0                                        // wait for swizzle operation
v_accvgpr_write_b32 acc54, v5                      // 
v_accvgpr_write_b32 acc118, v6                     // 
v_accvgpr_write_b32 acc182, v7                     // 
v_accvgpr_write_b32 acc246, v8                     // 
v_accvgpr_read_b32 v5, acc71                       // glvw 11 mb 0 tt1 28 r 0
v_accvgpr_read_b32 v6, acc135                      // glvw 11 mb 0 tt1 28 r 0
v_accvgpr_read_b32 v7, acc199                      // glvw 11 mb 0 tt1 28 r 0
v_accvgpr_read_b32 v8, acc7                        // glvw 11 mb 0 tt1 28 r 0
s_nop 1                                            // v_accvgpr read vgpr after write vgpr: 2 wait states
ds_bpermute_b32 v5, v0, v5, offset:4               // permute edge values
ds_bpermute_b32 v6, v0, v6, offset:4               // permute edge values
	;; [unrolled: 1-line block ×4, first 2 shown]
s_waitcnt 0                                        // wait for swizzle operation
v_accvgpr_write_b32 acc7, v5                       // 
v_accvgpr_write_b32 acc71, v6                      // 
v_accvgpr_write_b32 acc135, v7                     // 
v_accvgpr_write_b32 acc199, v8                     // 
v_accvgpr_read_b32 v5, acc87                       // glvw 11 mb 0 tt1 29 r 0
v_accvgpr_read_b32 v6, acc151                      // glvw 11 mb 0 tt1 29 r 0
v_accvgpr_read_b32 v7, acc215                      // glvw 11 mb 0 tt1 29 r 0
v_accvgpr_read_b32 v8, acc23                       // glvw 11 mb 0 tt1 29 r 0
s_nop 1                                            // v_accvgpr read vgpr after write vgpr: 2 wait states
ds_bpermute_b32 v5, v0, v5, offset:4               // permute edge values
ds_bpermute_b32 v6, v0, v6, offset:4               // permute edge values
	;; [unrolled: 1-line block ×4, first 2 shown]
s_waitcnt 0                                        // wait for swizzle operation
v_accvgpr_write_b32 acc23, v5                      // 
v_accvgpr_write_b32 acc87, v6                      // 
v_accvgpr_write_b32 acc151, v7                     // 
v_accvgpr_write_b32 acc215, v8                     // 
v_accvgpr_read_b32 v5, acc103                      // glvw 11 mb 0 tt1 30 r 0
v_accvgpr_read_b32 v6, acc167                      // glvw 11 mb 0 tt1 30 r 0
v_accvgpr_read_b32 v7, acc231                      // glvw 11 mb 0 tt1 30 r 0
v_accvgpr_read_b32 v8, acc39                       // glvw 11 mb 0 tt1 30 r 0
s_nop 1                                            // v_accvgpr read vgpr after write vgpr: 2 wait states
ds_bpermute_b32 v5, v0, v5, offset:4               // permute edge values
ds_bpermute_b32 v6, v0, v6, offset:4               // permute edge values
	;; [unrolled: 1-line block ×4, first 2 shown]
s_waitcnt 0                                        // wait for swizzle operation
v_accvgpr_write_b32 acc39, v5                      // 
v_accvgpr_write_b32 acc103, v6                     // 
v_accvgpr_write_b32 acc167, v7                     // 
v_accvgpr_write_b32 acc231, v8                     // 
v_accvgpr_read_b32 v5, acc119                      // glvw 11 mb 0 tt1 31 r 0
v_accvgpr_read_b32 v6, acc183                      // glvw 11 mb 0 tt1 31 r 0
v_accvgpr_read_b32 v7, acc247                      // glvw 11 mb 0 tt1 31 r 0
v_accvgpr_read_b32 v8, acc55                       // glvw 11 mb 0 tt1 31 r 0
s_nop 1                                            // v_accvgpr read vgpr after write vgpr: 2 wait states
ds_bpermute_b32 v5, v0, v5, offset:4               // permute edge values
ds_bpermute_b32 v6, v0, v6, offset:4               // permute edge values
	;; [unrolled: 1-line block ×4, first 2 shown]
s_waitcnt 0                                        // wait for swizzle operation
v_accvgpr_write_b32 acc55, v5                      // 
v_accvgpr_write_b32 acc119, v6                     // 
v_accvgpr_write_b32 acc183, v7                     // 
v_accvgpr_write_b32 acc247, v8                     // 
v_accvgpr_read_b32 v5, acc72                       // glvw 11 mb 0 tt1 32 r 0
v_accvgpr_read_b32 v6, acc136                      // glvw 11 mb 0 tt1 32 r 0
v_accvgpr_read_b32 v7, acc200                      // glvw 11 mb 0 tt1 32 r 0
v_accvgpr_read_b32 v8, acc8                        // glvw 11 mb 0 tt1 32 r 0
s_nop 1                                            // v_accvgpr read vgpr after write vgpr: 2 wait states
ds_bpermute_b32 v5, v0, v5, offset:4               // permute edge values
ds_bpermute_b32 v6, v0, v6, offset:4               // permute edge values
	;; [unrolled: 1-line block ×4, first 2 shown]
s_waitcnt 0                                        // wait for swizzle operation
v_accvgpr_write_b32 acc8, v5                       // 
v_accvgpr_write_b32 acc72, v6                      // 
v_accvgpr_write_b32 acc136, v7                     // 
v_accvgpr_write_b32 acc200, v8                     // 
v_accvgpr_read_b32 v5, acc88                       // glvw 11 mb 0 tt1 33 r 0
v_accvgpr_read_b32 v6, acc152                      // glvw 11 mb 0 tt1 33 r 0
v_accvgpr_read_b32 v7, acc216                      // glvw 11 mb 0 tt1 33 r 0
v_accvgpr_read_b32 v8, acc24                       // glvw 11 mb 0 tt1 33 r 0
s_nop 1                                            // v_accvgpr read vgpr after write vgpr: 2 wait states
ds_bpermute_b32 v5, v0, v5, offset:4               // permute edge values
ds_bpermute_b32 v6, v0, v6, offset:4               // permute edge values
	;; [unrolled: 1-line block ×4, first 2 shown]
s_waitcnt 0                                        // wait for swizzle operation
v_accvgpr_write_b32 acc24, v5                      // 
v_accvgpr_write_b32 acc88, v6                      // 
v_accvgpr_write_b32 acc152, v7                     // 
v_accvgpr_write_b32 acc216, v8                     // 
v_accvgpr_read_b32 v5, acc104                      // glvw 11 mb 0 tt1 34 r 0
v_accvgpr_read_b32 v6, acc168                      // glvw 11 mb 0 tt1 34 r 0
v_accvgpr_read_b32 v7, acc232                      // glvw 11 mb 0 tt1 34 r 0
v_accvgpr_read_b32 v8, acc40                       // glvw 11 mb 0 tt1 34 r 0
s_nop 1                                            // v_accvgpr read vgpr after write vgpr: 2 wait states
ds_bpermute_b32 v5, v0, v5, offset:4               // permute edge values
ds_bpermute_b32 v6, v0, v6, offset:4               // permute edge values
	;; [unrolled: 1-line block ×4, first 2 shown]
s_waitcnt 0                                        // wait for swizzle operation
v_accvgpr_write_b32 acc40, v5                      // 
v_accvgpr_write_b32 acc104, v6                     // 
v_accvgpr_write_b32 acc168, v7                     // 
v_accvgpr_write_b32 acc232, v8                     // 
v_accvgpr_read_b32 v5, acc120                      // glvw 11 mb 0 tt1 35 r 0
v_accvgpr_read_b32 v6, acc184                      // glvw 11 mb 0 tt1 35 r 0
v_accvgpr_read_b32 v7, acc248                      // glvw 11 mb 0 tt1 35 r 0
v_accvgpr_read_b32 v8, acc56                       // glvw 11 mb 0 tt1 35 r 0
s_nop 1                                            // v_accvgpr read vgpr after write vgpr: 2 wait states
ds_bpermute_b32 v5, v0, v5, offset:4               // permute edge values
ds_bpermute_b32 v6, v0, v6, offset:4               // permute edge values
	;; [unrolled: 1-line block ×4, first 2 shown]
s_waitcnt 0                                        // wait for swizzle operation
v_accvgpr_write_b32 acc56, v5                      // 
v_accvgpr_write_b32 acc120, v6                     // 
v_accvgpr_write_b32 acc184, v7                     // 
v_accvgpr_write_b32 acc248, v8                     // 
v_accvgpr_read_b32 v5, acc73                       // glvw 11 mb 0 tt1 36 r 0
v_accvgpr_read_b32 v6, acc137                      // glvw 11 mb 0 tt1 36 r 0
v_accvgpr_read_b32 v7, acc201                      // glvw 11 mb 0 tt1 36 r 0
v_accvgpr_read_b32 v8, acc9                        // glvw 11 mb 0 tt1 36 r 0
s_nop 1                                            // v_accvgpr read vgpr after write vgpr: 2 wait states
ds_bpermute_b32 v5, v0, v5, offset:4               // permute edge values
ds_bpermute_b32 v6, v0, v6, offset:4               // permute edge values
ds_bpermute_b32 v7, v0, v7, offset:4               // permute edge values
ds_bpermute_b32 v8, v0, v8, offset:8               // permute edge values
s_waitcnt 0                                        // wait for swizzle operation
v_accvgpr_write_b32 acc9, v5                       // 
v_accvgpr_write_b32 acc73, v6                      // 
v_accvgpr_write_b32 acc137, v7                     // 
v_accvgpr_write_b32 acc201, v8                     // 
v_accvgpr_read_b32 v5, acc89                       // glvw 11 mb 0 tt1 37 r 0
v_accvgpr_read_b32 v6, acc153                      // glvw 11 mb 0 tt1 37 r 0
v_accvgpr_read_b32 v7, acc217                      // glvw 11 mb 0 tt1 37 r 0
v_accvgpr_read_b32 v8, acc25                       // glvw 11 mb 0 tt1 37 r 0
s_nop 1                                            // v_accvgpr read vgpr after write vgpr: 2 wait states
ds_bpermute_b32 v5, v0, v5, offset:4               // permute edge values
ds_bpermute_b32 v6, v0, v6, offset:4               // permute edge values
	;; [unrolled: 1-line block ×4, first 2 shown]
s_waitcnt 0                                        // wait for swizzle operation
v_accvgpr_write_b32 acc25, v5                      // 
v_accvgpr_write_b32 acc89, v6                      // 
v_accvgpr_write_b32 acc153, v7                     // 
v_accvgpr_write_b32 acc217, v8                     // 
v_accvgpr_read_b32 v5, acc105                      // glvw 11 mb 0 tt1 38 r 0
v_accvgpr_read_b32 v6, acc169                      // glvw 11 mb 0 tt1 38 r 0
v_accvgpr_read_b32 v7, acc233                      // glvw 11 mb 0 tt1 38 r 0
v_accvgpr_read_b32 v8, acc41                       // glvw 11 mb 0 tt1 38 r 0
s_nop 1                                            // v_accvgpr read vgpr after write vgpr: 2 wait states
ds_bpermute_b32 v5, v0, v5, offset:4               // permute edge values
ds_bpermute_b32 v6, v0, v6, offset:4               // permute edge values
	;; [unrolled: 1-line block ×4, first 2 shown]
s_waitcnt 0                                        // wait for swizzle operation
v_accvgpr_write_b32 acc41, v5                      // 
v_accvgpr_write_b32 acc105, v6                     // 
v_accvgpr_write_b32 acc169, v7                     // 
v_accvgpr_write_b32 acc233, v8                     // 
v_accvgpr_read_b32 v5, acc121                      // glvw 11 mb 0 tt1 39 r 0
v_accvgpr_read_b32 v6, acc185                      // glvw 11 mb 0 tt1 39 r 0
v_accvgpr_read_b32 v7, acc249                      // glvw 11 mb 0 tt1 39 r 0
v_accvgpr_read_b32 v8, acc57                       // glvw 11 mb 0 tt1 39 r 0
s_nop 1                                            // v_accvgpr read vgpr after write vgpr: 2 wait states
ds_bpermute_b32 v5, v0, v5, offset:4               // permute edge values
ds_bpermute_b32 v6, v0, v6, offset:4               // permute edge values
ds_bpermute_b32 v7, v0, v7, offset:4               // permute edge values
ds_bpermute_b32 v8, v0, v8, offset:8               // permute edge values
s_waitcnt 0                                        // wait for swizzle operation
v_accvgpr_write_b32 acc57, v5                      // 
v_accvgpr_write_b32 acc121, v6                     // 
v_accvgpr_write_b32 acc185, v7                     // 
v_accvgpr_write_b32 acc249, v8                     // 
v_accvgpr_read_b32 v5, acc74                       // glvw 11 mb 0 tt1 40 r 0
v_accvgpr_read_b32 v6, acc138                      // glvw 11 mb 0 tt1 40 r 0
v_accvgpr_read_b32 v7, acc202                      // glvw 11 mb 0 tt1 40 r 0
v_accvgpr_read_b32 v8, acc10                       // glvw 11 mb 0 tt1 40 r 0
s_nop 1                                            // v_accvgpr read vgpr after write vgpr: 2 wait states
ds_bpermute_b32 v5, v0, v5, offset:4               // permute edge values
ds_bpermute_b32 v6, v0, v6, offset:4               // permute edge values
	;; [unrolled: 1-line block ×4, first 2 shown]
s_waitcnt 0                                        // wait for swizzle operation
v_accvgpr_write_b32 acc10, v5                      // 
v_accvgpr_write_b32 acc74, v6                      // 
v_accvgpr_write_b32 acc138, v7                     // 
v_accvgpr_write_b32 acc202, v8                     // 
v_accvgpr_read_b32 v5, acc90                       // glvw 11 mb 0 tt1 41 r 0
v_accvgpr_read_b32 v6, acc154                      // glvw 11 mb 0 tt1 41 r 0
v_accvgpr_read_b32 v7, acc218                      // glvw 11 mb 0 tt1 41 r 0
v_accvgpr_read_b32 v8, acc26                       // glvw 11 mb 0 tt1 41 r 0
s_nop 1                                            // v_accvgpr read vgpr after write vgpr: 2 wait states
ds_bpermute_b32 v5, v0, v5, offset:4               // permute edge values
ds_bpermute_b32 v6, v0, v6, offset:4               // permute edge values
	;; [unrolled: 1-line block ×4, first 2 shown]
s_waitcnt 0                                        // wait for swizzle operation
v_accvgpr_write_b32 acc26, v5                      // 
v_accvgpr_write_b32 acc90, v6                      // 
v_accvgpr_write_b32 acc154, v7                     // 
v_accvgpr_write_b32 acc218, v8                     // 
v_accvgpr_read_b32 v5, acc106                      // glvw 11 mb 0 tt1 42 r 0
v_accvgpr_read_b32 v6, acc170                      // glvw 11 mb 0 tt1 42 r 0
v_accvgpr_read_b32 v7, acc234                      // glvw 11 mb 0 tt1 42 r 0
v_accvgpr_read_b32 v8, acc42                       // glvw 11 mb 0 tt1 42 r 0
s_nop 1                                            // v_accvgpr read vgpr after write vgpr: 2 wait states
ds_bpermute_b32 v5, v0, v5, offset:4               // permute edge values
ds_bpermute_b32 v6, v0, v6, offset:4               // permute edge values
	;; [unrolled: 1-line block ×4, first 2 shown]
s_waitcnt 0                                        // wait for swizzle operation
v_accvgpr_write_b32 acc42, v5                      // 
v_accvgpr_write_b32 acc106, v6                     // 
v_accvgpr_write_b32 acc170, v7                     // 
v_accvgpr_write_b32 acc234, v8                     // 
v_accvgpr_read_b32 v5, acc122                      // glvw 11 mb 0 tt1 43 r 0
v_accvgpr_read_b32 v6, acc186                      // glvw 11 mb 0 tt1 43 r 0
v_accvgpr_read_b32 v7, acc250                      // glvw 11 mb 0 tt1 43 r 0
v_accvgpr_read_b32 v8, acc58                       // glvw 11 mb 0 tt1 43 r 0
s_nop 1                                            // v_accvgpr read vgpr after write vgpr: 2 wait states
ds_bpermute_b32 v5, v0, v5, offset:4               // permute edge values
ds_bpermute_b32 v6, v0, v6, offset:4               // permute edge values
ds_bpermute_b32 v7, v0, v7, offset:4               // permute edge values
ds_bpermute_b32 v8, v0, v8, offset:8               // permute edge values
s_waitcnt 0                                        // wait for swizzle operation
v_accvgpr_write_b32 acc58, v5                      // 
v_accvgpr_write_b32 acc122, v6                     // 
v_accvgpr_write_b32 acc186, v7                     // 
v_accvgpr_write_b32 acc250, v8                     // 
v_accvgpr_read_b32 v5, acc75                       // glvw 11 mb 0 tt1 44 r 0
v_accvgpr_read_b32 v6, acc139                      // glvw 11 mb 0 tt1 44 r 0
v_accvgpr_read_b32 v7, acc203                      // glvw 11 mb 0 tt1 44 r 0
v_accvgpr_read_b32 v8, acc11                       // glvw 11 mb 0 tt1 44 r 0
s_nop 1                                            // v_accvgpr read vgpr after write vgpr: 2 wait states
ds_bpermute_b32 v5, v0, v5, offset:4               // permute edge values
ds_bpermute_b32 v6, v0, v6, offset:4               // permute edge values
	;; [unrolled: 1-line block ×4, first 2 shown]
s_waitcnt 0                                        // wait for swizzle operation
v_accvgpr_write_b32 acc11, v5                      // 
v_accvgpr_write_b32 acc75, v6                      // 
v_accvgpr_write_b32 acc139, v7                     // 
v_accvgpr_write_b32 acc203, v8                     // 
v_accvgpr_read_b32 v5, acc91                       // glvw 11 mb 0 tt1 45 r 0
v_accvgpr_read_b32 v6, acc155                      // glvw 11 mb 0 tt1 45 r 0
v_accvgpr_read_b32 v7, acc219                      // glvw 11 mb 0 tt1 45 r 0
v_accvgpr_read_b32 v8, acc27                       // glvw 11 mb 0 tt1 45 r 0
s_nop 1                                            // v_accvgpr read vgpr after write vgpr: 2 wait states
ds_bpermute_b32 v5, v0, v5, offset:4               // permute edge values
ds_bpermute_b32 v6, v0, v6, offset:4               // permute edge values
	;; [unrolled: 1-line block ×4, first 2 shown]
s_waitcnt 0                                        // wait for swizzle operation
v_accvgpr_write_b32 acc27, v5                      // 
v_accvgpr_write_b32 acc91, v6                      // 
v_accvgpr_write_b32 acc155, v7                     // 
v_accvgpr_write_b32 acc219, v8                     // 
v_accvgpr_read_b32 v5, acc107                      // glvw 11 mb 0 tt1 46 r 0
v_accvgpr_read_b32 v6, acc171                      // glvw 11 mb 0 tt1 46 r 0
v_accvgpr_read_b32 v7, acc235                      // glvw 11 mb 0 tt1 46 r 0
v_accvgpr_read_b32 v8, acc43                       // glvw 11 mb 0 tt1 46 r 0
s_nop 1                                            // v_accvgpr read vgpr after write vgpr: 2 wait states
ds_bpermute_b32 v5, v0, v5, offset:4               // permute edge values
ds_bpermute_b32 v6, v0, v6, offset:4               // permute edge values
	;; [unrolled: 1-line block ×4, first 2 shown]
s_waitcnt 0                                        // wait for swizzle operation
v_accvgpr_write_b32 acc43, v5                      // 
v_accvgpr_write_b32 acc107, v6                     // 
v_accvgpr_write_b32 acc171, v7                     // 
v_accvgpr_write_b32 acc235, v8                     // 
v_accvgpr_read_b32 v5, acc123                      // glvw 11 mb 0 tt1 47 r 0
v_accvgpr_read_b32 v6, acc187                      // glvw 11 mb 0 tt1 47 r 0
v_accvgpr_read_b32 v7, acc251                      // glvw 11 mb 0 tt1 47 r 0
v_accvgpr_read_b32 v8, acc59                       // glvw 11 mb 0 tt1 47 r 0
s_nop 1                                            // v_accvgpr read vgpr after write vgpr: 2 wait states
ds_bpermute_b32 v5, v0, v5, offset:4               // permute edge values
ds_bpermute_b32 v6, v0, v6, offset:4               // permute edge values
	;; [unrolled: 1-line block ×4, first 2 shown]
s_waitcnt 0                                        // wait for swizzle operation
v_accvgpr_write_b32 acc59, v5                      // 
v_accvgpr_write_b32 acc123, v6                     // 
v_accvgpr_write_b32 acc187, v7                     // 
v_accvgpr_write_b32 acc251, v8                     // 
v_accvgpr_read_b32 v5, acc76                       // glvw 11 mb 0 tt1 48 r 0
v_accvgpr_read_b32 v6, acc140                      // glvw 11 mb 0 tt1 48 r 0
v_accvgpr_read_b32 v7, acc204                      // glvw 11 mb 0 tt1 48 r 0
v_accvgpr_read_b32 v8, acc12                       // glvw 11 mb 0 tt1 48 r 0
s_nop 1                                            // v_accvgpr read vgpr after write vgpr: 2 wait states
ds_bpermute_b32 v5, v0, v5, offset:4               // permute edge values
ds_bpermute_b32 v6, v0, v6, offset:4               // permute edge values
	;; [unrolled: 1-line block ×4, first 2 shown]
s_waitcnt 0                                        // wait for swizzle operation
v_accvgpr_write_b32 acc12, v5                      // 
v_accvgpr_write_b32 acc76, v6                      // 
v_accvgpr_write_b32 acc140, v7                     // 
v_accvgpr_write_b32 acc204, v8                     // 
v_accvgpr_read_b32 v5, acc92                       // glvw 11 mb 0 tt1 49 r 0
v_accvgpr_read_b32 v6, acc156                      // glvw 11 mb 0 tt1 49 r 0
v_accvgpr_read_b32 v7, acc220                      // glvw 11 mb 0 tt1 49 r 0
v_accvgpr_read_b32 v8, acc28                       // glvw 11 mb 0 tt1 49 r 0
s_nop 1                                            // v_accvgpr read vgpr after write vgpr: 2 wait states
ds_bpermute_b32 v5, v0, v5, offset:4               // permute edge values
ds_bpermute_b32 v6, v0, v6, offset:4               // permute edge values
	;; [unrolled: 1-line block ×4, first 2 shown]
s_waitcnt 0                                        // wait for swizzle operation
v_accvgpr_write_b32 acc28, v5                      // 
v_accvgpr_write_b32 acc92, v6                      // 
v_accvgpr_write_b32 acc156, v7                     // 
v_accvgpr_write_b32 acc220, v8                     // 
v_accvgpr_read_b32 v5, acc108                      // glvw 11 mb 0 tt1 50 r 0
v_accvgpr_read_b32 v6, acc172                      // glvw 11 mb 0 tt1 50 r 0
v_accvgpr_read_b32 v7, acc236                      // glvw 11 mb 0 tt1 50 r 0
v_accvgpr_read_b32 v8, acc44                       // glvw 11 mb 0 tt1 50 r 0
s_nop 1                                            // v_accvgpr read vgpr after write vgpr: 2 wait states
ds_bpermute_b32 v5, v0, v5, offset:4               // permute edge values
ds_bpermute_b32 v6, v0, v6, offset:4               // permute edge values
	;; [unrolled: 1-line block ×4, first 2 shown]
s_waitcnt 0                                        // wait for swizzle operation
v_accvgpr_write_b32 acc44, v5                      // 
v_accvgpr_write_b32 acc108, v6                     // 
v_accvgpr_write_b32 acc172, v7                     // 
v_accvgpr_write_b32 acc236, v8                     // 
v_accvgpr_read_b32 v5, acc124                      // glvw 11 mb 0 tt1 51 r 0
v_accvgpr_read_b32 v6, acc188                      // glvw 11 mb 0 tt1 51 r 0
v_accvgpr_read_b32 v7, acc252                      // glvw 11 mb 0 tt1 51 r 0
v_accvgpr_read_b32 v8, acc60                       // glvw 11 mb 0 tt1 51 r 0
s_nop 1                                            // v_accvgpr read vgpr after write vgpr: 2 wait states
ds_bpermute_b32 v5, v0, v5, offset:4               // permute edge values
ds_bpermute_b32 v6, v0, v6, offset:4               // permute edge values
ds_bpermute_b32 v7, v0, v7, offset:4               // permute edge values
ds_bpermute_b32 v8, v0, v8, offset:8               // permute edge values
s_waitcnt 0                                        // wait for swizzle operation
v_accvgpr_write_b32 acc60, v5                      // 
v_accvgpr_write_b32 acc124, v6                     // 
v_accvgpr_write_b32 acc188, v7                     // 
v_accvgpr_write_b32 acc252, v8                     // 
v_accvgpr_read_b32 v5, acc77                       // glvw 11 mb 0 tt1 52 r 0
v_accvgpr_read_b32 v6, acc141                      // glvw 11 mb 0 tt1 52 r 0
v_accvgpr_read_b32 v7, acc205                      // glvw 11 mb 0 tt1 52 r 0
v_accvgpr_read_b32 v8, acc13                       // glvw 11 mb 0 tt1 52 r 0
s_nop 1                                            // v_accvgpr read vgpr after write vgpr: 2 wait states
ds_bpermute_b32 v5, v0, v5, offset:4               // permute edge values
ds_bpermute_b32 v6, v0, v6, offset:4               // permute edge values
	;; [unrolled: 1-line block ×4, first 2 shown]
s_waitcnt 0                                        // wait for swizzle operation
v_accvgpr_write_b32 acc13, v5                      // 
v_accvgpr_write_b32 acc77, v6                      // 
v_accvgpr_write_b32 acc141, v7                     // 
v_accvgpr_write_b32 acc205, v8                     // 
v_accvgpr_read_b32 v5, acc93                       // glvw 11 mb 0 tt1 53 r 0
v_accvgpr_read_b32 v6, acc157                      // glvw 11 mb 0 tt1 53 r 0
v_accvgpr_read_b32 v7, acc221                      // glvw 11 mb 0 tt1 53 r 0
v_accvgpr_read_b32 v8, acc29                       // glvw 11 mb 0 tt1 53 r 0
s_nop 1                                            // v_accvgpr read vgpr after write vgpr: 2 wait states
ds_bpermute_b32 v5, v0, v5, offset:4               // permute edge values
ds_bpermute_b32 v6, v0, v6, offset:4               // permute edge values
	;; [unrolled: 1-line block ×4, first 2 shown]
s_waitcnt 0                                        // wait for swizzle operation
v_accvgpr_write_b32 acc29, v5                      // 
v_accvgpr_write_b32 acc93, v6                      // 
v_accvgpr_write_b32 acc157, v7                     // 
v_accvgpr_write_b32 acc221, v8                     // 
v_accvgpr_read_b32 v5, acc109                      // glvw 11 mb 0 tt1 54 r 0
v_accvgpr_read_b32 v6, acc173                      // glvw 11 mb 0 tt1 54 r 0
v_accvgpr_read_b32 v7, acc237                      // glvw 11 mb 0 tt1 54 r 0
v_accvgpr_read_b32 v8, acc45                       // glvw 11 mb 0 tt1 54 r 0
s_nop 1                                            // v_accvgpr read vgpr after write vgpr: 2 wait states
ds_bpermute_b32 v5, v0, v5, offset:4               // permute edge values
ds_bpermute_b32 v6, v0, v6, offset:4               // permute edge values
	;; [unrolled: 1-line block ×4, first 2 shown]
s_waitcnt 0                                        // wait for swizzle operation
v_accvgpr_write_b32 acc45, v5                      // 
v_accvgpr_write_b32 acc109, v6                     // 
v_accvgpr_write_b32 acc173, v7                     // 
v_accvgpr_write_b32 acc237, v8                     // 
v_accvgpr_read_b32 v5, acc125                      // glvw 11 mb 0 tt1 55 r 0
v_accvgpr_read_b32 v6, acc189                      // glvw 11 mb 0 tt1 55 r 0
v_accvgpr_read_b32 v7, acc253                      // glvw 11 mb 0 tt1 55 r 0
v_accvgpr_read_b32 v8, acc61                       // glvw 11 mb 0 tt1 55 r 0
s_nop 1                                            // v_accvgpr read vgpr after write vgpr: 2 wait states
ds_bpermute_b32 v5, v0, v5, offset:4               // permute edge values
ds_bpermute_b32 v6, v0, v6, offset:4               // permute edge values
	;; [unrolled: 1-line block ×4, first 2 shown]
s_waitcnt 0                                        // wait for swizzle operation
v_accvgpr_write_b32 acc61, v5                      // 
v_accvgpr_write_b32 acc125, v6                     // 
v_accvgpr_write_b32 acc189, v7                     // 
v_accvgpr_write_b32 acc253, v8                     // 
v_accvgpr_read_b32 v5, acc78                       // glvw 11 mb 0 tt1 56 r 0
v_accvgpr_read_b32 v6, acc142                      // glvw 11 mb 0 tt1 56 r 0
v_accvgpr_read_b32 v7, acc206                      // glvw 11 mb 0 tt1 56 r 0
v_accvgpr_read_b32 v8, acc14                       // glvw 11 mb 0 tt1 56 r 0
s_nop 1                                            // v_accvgpr read vgpr after write vgpr: 2 wait states
ds_bpermute_b32 v5, v0, v5, offset:4               // permute edge values
ds_bpermute_b32 v6, v0, v6, offset:4               // permute edge values
	;; [unrolled: 1-line block ×4, first 2 shown]
s_waitcnt 0                                        // wait for swizzle operation
v_accvgpr_write_b32 acc14, v5                      // 
v_accvgpr_write_b32 acc78, v6                      // 
v_accvgpr_write_b32 acc142, v7                     // 
v_accvgpr_write_b32 acc206, v8                     // 
v_accvgpr_read_b32 v5, acc94                       // glvw 11 mb 0 tt1 57 r 0
v_accvgpr_read_b32 v6, acc158                      // glvw 11 mb 0 tt1 57 r 0
v_accvgpr_read_b32 v7, acc222                      // glvw 11 mb 0 tt1 57 r 0
v_accvgpr_read_b32 v8, acc30                       // glvw 11 mb 0 tt1 57 r 0
s_nop 1                                            // v_accvgpr read vgpr after write vgpr: 2 wait states
ds_bpermute_b32 v5, v0, v5, offset:4               // permute edge values
ds_bpermute_b32 v6, v0, v6, offset:4               // permute edge values
	;; [unrolled: 1-line block ×4, first 2 shown]
s_waitcnt 0                                        // wait for swizzle operation
v_accvgpr_write_b32 acc30, v5                      // 
v_accvgpr_write_b32 acc94, v6                      // 
v_accvgpr_write_b32 acc158, v7                     // 
v_accvgpr_write_b32 acc222, v8                     // 
v_accvgpr_read_b32 v5, acc110                      // glvw 11 mb 0 tt1 58 r 0
v_accvgpr_read_b32 v6, acc174                      // glvw 11 mb 0 tt1 58 r 0
v_accvgpr_read_b32 v7, acc238                      // glvw 11 mb 0 tt1 58 r 0
v_accvgpr_read_b32 v8, acc46                       // glvw 11 mb 0 tt1 58 r 0
s_nop 1                                            // v_accvgpr read vgpr after write vgpr: 2 wait states
ds_bpermute_b32 v5, v0, v5, offset:4               // permute edge values
ds_bpermute_b32 v6, v0, v6, offset:4               // permute edge values
	;; [unrolled: 1-line block ×4, first 2 shown]
s_waitcnt 0                                        // wait for swizzle operation
v_accvgpr_write_b32 acc46, v5                      // 
v_accvgpr_write_b32 acc110, v6                     // 
v_accvgpr_write_b32 acc174, v7                     // 
v_accvgpr_write_b32 acc238, v8                     // 
v_accvgpr_read_b32 v5, acc126                      // glvw 11 mb 0 tt1 59 r 0
v_accvgpr_read_b32 v6, acc190                      // glvw 11 mb 0 tt1 59 r 0
v_accvgpr_read_b32 v7, acc254                      // glvw 11 mb 0 tt1 59 r 0
v_accvgpr_read_b32 v8, acc62                       // glvw 11 mb 0 tt1 59 r 0
s_nop 1                                            // v_accvgpr read vgpr after write vgpr: 2 wait states
ds_bpermute_b32 v5, v0, v5, offset:4               // permute edge values
ds_bpermute_b32 v6, v0, v6, offset:4               // permute edge values
	;; [unrolled: 1-line block ×4, first 2 shown]
s_waitcnt 0                                        // wait for swizzle operation
v_accvgpr_write_b32 acc62, v5                      // 
v_accvgpr_write_b32 acc126, v6                     // 
v_accvgpr_write_b32 acc190, v7                     // 
v_accvgpr_write_b32 acc254, v8                     // 
v_accvgpr_read_b32 v5, acc79                       // glvw 11 mb 0 tt1 60 r 0
v_accvgpr_read_b32 v6, acc143                      // glvw 11 mb 0 tt1 60 r 0
v_accvgpr_read_b32 v7, acc207                      // glvw 11 mb 0 tt1 60 r 0
v_accvgpr_read_b32 v8, acc15                       // glvw 11 mb 0 tt1 60 r 0
s_nop 1                                            // v_accvgpr read vgpr after write vgpr: 2 wait states
ds_bpermute_b32 v5, v0, v5, offset:4               // permute edge values
ds_bpermute_b32 v6, v0, v6, offset:4               // permute edge values
	;; [unrolled: 1-line block ×4, first 2 shown]
s_waitcnt 0                                        // wait for swizzle operation
v_accvgpr_write_b32 acc15, v5                      // 
v_accvgpr_write_b32 acc79, v6                      // 
v_accvgpr_write_b32 acc143, v7                     // 
v_accvgpr_write_b32 acc207, v8                     // 
v_accvgpr_read_b32 v5, acc95                       // glvw 11 mb 0 tt1 61 r 0
v_accvgpr_read_b32 v6, acc159                      // glvw 11 mb 0 tt1 61 r 0
v_accvgpr_read_b32 v7, acc223                      // glvw 11 mb 0 tt1 61 r 0
v_accvgpr_read_b32 v8, acc31                       // glvw 11 mb 0 tt1 61 r 0
s_nop 1                                            // v_accvgpr read vgpr after write vgpr: 2 wait states
ds_bpermute_b32 v5, v0, v5, offset:4               // permute edge values
ds_bpermute_b32 v6, v0, v6, offset:4               // permute edge values
	;; [unrolled: 1-line block ×4, first 2 shown]
s_waitcnt 0                                        // wait for swizzle operation
v_accvgpr_write_b32 acc31, v5                      // 
v_accvgpr_write_b32 acc95, v6                      // 
v_accvgpr_write_b32 acc159, v7                     // 
v_accvgpr_write_b32 acc223, v8                     // 
v_accvgpr_read_b32 v5, acc111                      // glvw 11 mb 0 tt1 62 r 0
v_accvgpr_read_b32 v6, acc175                      // glvw 11 mb 0 tt1 62 r 0
v_accvgpr_read_b32 v7, acc239                      // glvw 11 mb 0 tt1 62 r 0
v_accvgpr_read_b32 v8, acc47                       // glvw 11 mb 0 tt1 62 r 0
s_nop 1                                            // v_accvgpr read vgpr after write vgpr: 2 wait states
ds_bpermute_b32 v5, v0, v5, offset:4               // permute edge values
ds_bpermute_b32 v6, v0, v6, offset:4               // permute edge values
	;; [unrolled: 1-line block ×4, first 2 shown]
s_waitcnt 0                                        // wait for swizzle operation
v_accvgpr_write_b32 acc47, v5                      // 
v_accvgpr_write_b32 acc111, v6                     // 
v_accvgpr_write_b32 acc175, v7                     // 
v_accvgpr_write_b32 acc239, v8                     // 
v_accvgpr_read_b32 v5, acc127                      // glvw 11 mb 0 tt1 63 r 0
v_accvgpr_read_b32 v6, acc191                      // glvw 11 mb 0 tt1 63 r 0
v_accvgpr_read_b32 v7, acc255                      // glvw 11 mb 0 tt1 63 r 0
v_accvgpr_read_b32 v8, acc63                       // glvw 11 mb 0 tt1 63 r 0
s_nop 1                                            // v_accvgpr read vgpr after write vgpr: 2 wait states
ds_bpermute_b32 v5, v0, v5, offset:4               // permute edge values
ds_bpermute_b32 v6, v0, v6, offset:4               // permute edge values
	;; [unrolled: 1-line block ×4, first 2 shown]
s_waitcnt 0                                        // wait for swizzle operation
v_accvgpr_write_b32 acc63, v5                      // 
v_accvgpr_write_b32 acc127, v6                     // 
v_accvgpr_write_b32 acc191, v7                     // 
v_accvgpr_write_b32 acc255, v8                     // 
s_mov_b64 s[42:43], 0xFFFFFFFFFFFFFFFF             // to restore all threads active
s_or_saveexec_b64 vcc, s[42:43]                    // all threads active
s_branch label_0222                                // done shifting


/******************************************/
/* shift d1 r=12 mb=0 vw0                 */
/******************************************/
label_0212: // r12 mb0 vw0 
s_mov_b32 s42, 0                                   // 
_v_cmpx_eq_u32 s[42:43], v4, s42                   // is thread in edge glvw region
v_and_b32 v0, 63, v[vgprSerial]                    // permute register between threads
v_lshlrev_b32 v0, 2, v0                            // permute register between threads
v_accvgpr_read_b32 v5, acc0                        // glvw 12 mb 0 tt1 0 r 0
v_accvgpr_read_b32 v6, acc64                       // glvw 12 mb 0 tt1 0 r 0
v_accvgpr_read_b32 v7, acc128                      // glvw 12 mb 0 tt1 0 r 0
v_accvgpr_read_b32 v8, acc192                      // glvw 12 mb 0 tt1 0 r 0
s_nop 1                                            // v_accvgpr read vgpr after write vgpr: 2 wait states
ds_bpermute_b32 v5, v0, v5, offset:4               // permute edge values
ds_bpermute_b32 v6, v0, v6, offset:4               // permute edge values
ds_bpermute_b32 v7, v0, v7, offset:4               // permute edge values
ds_bpermute_b32 v8, v0, v8, offset:4               // permute edge values
s_waitcnt 0                                        // wait for swizzle operation
v_accvgpr_write_b32 acc0, v5                       // 
v_accvgpr_write_b32 acc64, v6                      // 
v_accvgpr_write_b32 acc128, v7                     // 
v_accvgpr_write_b32 acc192, v8                     // 
v_accvgpr_read_b32 v5, acc16                       // glvw 12 mb 0 tt1 1 r 0
v_accvgpr_read_b32 v6, acc80                       // glvw 12 mb 0 tt1 1 r 0
v_accvgpr_read_b32 v7, acc144                      // glvw 12 mb 0 tt1 1 r 0
v_accvgpr_read_b32 v8, acc208                      // glvw 12 mb 0 tt1 1 r 0
s_nop 1                                            // v_accvgpr read vgpr after write vgpr: 2 wait states
ds_bpermute_b32 v5, v0, v5, offset:4               // permute edge values
ds_bpermute_b32 v6, v0, v6, offset:4               // permute edge values
	;; [unrolled: 1-line block ×4, first 2 shown]
s_waitcnt 0                                        // wait for swizzle operation
v_accvgpr_write_b32 acc16, v5                      // 
v_accvgpr_write_b32 acc80, v6                      // 
v_accvgpr_write_b32 acc144, v7                     // 
v_accvgpr_write_b32 acc208, v8                     // 
v_accvgpr_read_b32 v5, acc32                       // glvw 12 mb 0 tt1 2 r 0
v_accvgpr_read_b32 v6, acc96                       // glvw 12 mb 0 tt1 2 r 0
v_accvgpr_read_b32 v7, acc160                      // glvw 12 mb 0 tt1 2 r 0
v_accvgpr_read_b32 v8, acc224                      // glvw 12 mb 0 tt1 2 r 0
s_nop 1                                            // v_accvgpr read vgpr after write vgpr: 2 wait states
ds_bpermute_b32 v5, v0, v5, offset:4               // permute edge values
ds_bpermute_b32 v6, v0, v6, offset:4               // permute edge values
	;; [unrolled: 1-line block ×4, first 2 shown]
s_waitcnt 0                                        // wait for swizzle operation
v_accvgpr_write_b32 acc32, v5                      // 
v_accvgpr_write_b32 acc96, v6                      // 
v_accvgpr_write_b32 acc160, v7                     // 
v_accvgpr_write_b32 acc224, v8                     // 
v_accvgpr_read_b32 v5, acc48                       // glvw 12 mb 0 tt1 3 r 0
v_accvgpr_read_b32 v6, acc112                      // glvw 12 mb 0 tt1 3 r 0
v_accvgpr_read_b32 v7, acc176                      // glvw 12 mb 0 tt1 3 r 0
v_accvgpr_read_b32 v8, acc240                      // glvw 12 mb 0 tt1 3 r 0
s_nop 1                                            // v_accvgpr read vgpr after write vgpr: 2 wait states
ds_bpermute_b32 v5, v0, v5, offset:4               // permute edge values
ds_bpermute_b32 v6, v0, v6, offset:4               // permute edge values
	;; [unrolled: 1-line block ×4, first 2 shown]
s_waitcnt 0                                        // wait for swizzle operation
v_accvgpr_write_b32 acc48, v5                      // 
v_accvgpr_write_b32 acc112, v6                     // 
v_accvgpr_write_b32 acc176, v7                     // 
v_accvgpr_write_b32 acc240, v8                     // 
v_accvgpr_read_b32 v5, acc1                        // glvw 12 mb 0 tt1 4 r 0
v_accvgpr_read_b32 v6, acc65                       // glvw 12 mb 0 tt1 4 r 0
v_accvgpr_read_b32 v7, acc129                      // glvw 12 mb 0 tt1 4 r 0
v_accvgpr_read_b32 v8, acc193                      // glvw 12 mb 0 tt1 4 r 0
s_nop 1                                            // v_accvgpr read vgpr after write vgpr: 2 wait states
ds_bpermute_b32 v5, v0, v5, offset:4               // permute edge values
ds_bpermute_b32 v6, v0, v6, offset:4               // permute edge values
	;; [unrolled: 1-line block ×4, first 2 shown]
s_waitcnt 0                                        // wait for swizzle operation
v_accvgpr_write_b32 acc1, v5                       // 
v_accvgpr_write_b32 acc65, v6                      // 
v_accvgpr_write_b32 acc129, v7                     // 
v_accvgpr_write_b32 acc193, v8                     // 
v_accvgpr_read_b32 v5, acc17                       // glvw 12 mb 0 tt1 5 r 0
v_accvgpr_read_b32 v6, acc81                       // glvw 12 mb 0 tt1 5 r 0
v_accvgpr_read_b32 v7, acc145                      // glvw 12 mb 0 tt1 5 r 0
v_accvgpr_read_b32 v8, acc209                      // glvw 12 mb 0 tt1 5 r 0
s_nop 1                                            // v_accvgpr read vgpr after write vgpr: 2 wait states
ds_bpermute_b32 v5, v0, v5, offset:4               // permute edge values
ds_bpermute_b32 v6, v0, v6, offset:4               // permute edge values
ds_bpermute_b32 v7, v0, v7, offset:4               // permute edge values
ds_bpermute_b32 v8, v0, v8, offset:4               // permute edge values
s_waitcnt 0                                        // wait for swizzle operation
v_accvgpr_write_b32 acc17, v5                      // 
v_accvgpr_write_b32 acc81, v6                      // 
v_accvgpr_write_b32 acc145, v7                     // 
v_accvgpr_write_b32 acc209, v8                     // 
v_accvgpr_read_b32 v5, acc33                       // glvw 12 mb 0 tt1 6 r 0
v_accvgpr_read_b32 v6, acc97                       // glvw 12 mb 0 tt1 6 r 0
v_accvgpr_read_b32 v7, acc161                      // glvw 12 mb 0 tt1 6 r 0
v_accvgpr_read_b32 v8, acc225                      // glvw 12 mb 0 tt1 6 r 0
s_nop 1                                            // v_accvgpr read vgpr after write vgpr: 2 wait states
ds_bpermute_b32 v5, v0, v5, offset:4               // permute edge values
ds_bpermute_b32 v6, v0, v6, offset:4               // permute edge values
	;; [unrolled: 1-line block ×4, first 2 shown]
s_waitcnt 0                                        // wait for swizzle operation
v_accvgpr_write_b32 acc33, v5                      // 
v_accvgpr_write_b32 acc97, v6                      // 
v_accvgpr_write_b32 acc161, v7                     // 
v_accvgpr_write_b32 acc225, v8                     // 
v_accvgpr_read_b32 v5, acc49                       // glvw 12 mb 0 tt1 7 r 0
v_accvgpr_read_b32 v6, acc113                      // glvw 12 mb 0 tt1 7 r 0
v_accvgpr_read_b32 v7, acc177                      // glvw 12 mb 0 tt1 7 r 0
v_accvgpr_read_b32 v8, acc241                      // glvw 12 mb 0 tt1 7 r 0
s_nop 1                                            // v_accvgpr read vgpr after write vgpr: 2 wait states
ds_bpermute_b32 v5, v0, v5, offset:4               // permute edge values
ds_bpermute_b32 v6, v0, v6, offset:4               // permute edge values
	;; [unrolled: 1-line block ×4, first 2 shown]
s_waitcnt 0                                        // wait for swizzle operation
v_accvgpr_write_b32 acc49, v5                      // 
v_accvgpr_write_b32 acc113, v6                     // 
v_accvgpr_write_b32 acc177, v7                     // 
v_accvgpr_write_b32 acc241, v8                     // 
v_accvgpr_read_b32 v5, acc2                        // glvw 12 mb 0 tt1 8 r 0
v_accvgpr_read_b32 v6, acc66                       // glvw 12 mb 0 tt1 8 r 0
v_accvgpr_read_b32 v7, acc130                      // glvw 12 mb 0 tt1 8 r 0
v_accvgpr_read_b32 v8, acc194                      // glvw 12 mb 0 tt1 8 r 0
s_nop 1                                            // v_accvgpr read vgpr after write vgpr: 2 wait states
ds_bpermute_b32 v5, v0, v5, offset:4               // permute edge values
ds_bpermute_b32 v6, v0, v6, offset:4               // permute edge values
	;; [unrolled: 1-line block ×4, first 2 shown]
s_waitcnt 0                                        // wait for swizzle operation
v_accvgpr_write_b32 acc2, v5                       // 
v_accvgpr_write_b32 acc66, v6                      // 
v_accvgpr_write_b32 acc130, v7                     // 
v_accvgpr_write_b32 acc194, v8                     // 
v_accvgpr_read_b32 v5, acc18                       // glvw 12 mb 0 tt1 9 r 0
v_accvgpr_read_b32 v6, acc82                       // glvw 12 mb 0 tt1 9 r 0
v_accvgpr_read_b32 v7, acc146                      // glvw 12 mb 0 tt1 9 r 0
v_accvgpr_read_b32 v8, acc210                      // glvw 12 mb 0 tt1 9 r 0
s_nop 1                                            // v_accvgpr read vgpr after write vgpr: 2 wait states
ds_bpermute_b32 v5, v0, v5, offset:4               // permute edge values
ds_bpermute_b32 v6, v0, v6, offset:4               // permute edge values
	;; [unrolled: 1-line block ×4, first 2 shown]
s_waitcnt 0                                        // wait for swizzle operation
v_accvgpr_write_b32 acc18, v5                      // 
v_accvgpr_write_b32 acc82, v6                      // 
v_accvgpr_write_b32 acc146, v7                     // 
v_accvgpr_write_b32 acc210, v8                     // 
v_accvgpr_read_b32 v5, acc34                       // glvw 12 mb 0 tt1 10 r 0
v_accvgpr_read_b32 v6, acc98                       // glvw 12 mb 0 tt1 10 r 0
v_accvgpr_read_b32 v7, acc162                      // glvw 12 mb 0 tt1 10 r 0
v_accvgpr_read_b32 v8, acc226                      // glvw 12 mb 0 tt1 10 r 0
s_nop 1                                            // v_accvgpr read vgpr after write vgpr: 2 wait states
ds_bpermute_b32 v5, v0, v5, offset:4               // permute edge values
ds_bpermute_b32 v6, v0, v6, offset:4               // permute edge values
	;; [unrolled: 1-line block ×4, first 2 shown]
s_waitcnt 0                                        // wait for swizzle operation
v_accvgpr_write_b32 acc34, v5                      // 
v_accvgpr_write_b32 acc98, v6                      // 
v_accvgpr_write_b32 acc162, v7                     // 
v_accvgpr_write_b32 acc226, v8                     // 
v_accvgpr_read_b32 v5, acc50                       // glvw 12 mb 0 tt1 11 r 0
v_accvgpr_read_b32 v6, acc114                      // glvw 12 mb 0 tt1 11 r 0
v_accvgpr_read_b32 v7, acc178                      // glvw 12 mb 0 tt1 11 r 0
v_accvgpr_read_b32 v8, acc242                      // glvw 12 mb 0 tt1 11 r 0
s_nop 1                                            // v_accvgpr read vgpr after write vgpr: 2 wait states
ds_bpermute_b32 v5, v0, v5, offset:4               // permute edge values
ds_bpermute_b32 v6, v0, v6, offset:4               // permute edge values
	;; [unrolled: 1-line block ×4, first 2 shown]
s_waitcnt 0                                        // wait for swizzle operation
v_accvgpr_write_b32 acc50, v5                      // 
v_accvgpr_write_b32 acc114, v6                     // 
v_accvgpr_write_b32 acc178, v7                     // 
v_accvgpr_write_b32 acc242, v8                     // 
v_accvgpr_read_b32 v5, acc3                        // glvw 12 mb 0 tt1 12 r 0
v_accvgpr_read_b32 v6, acc67                       // glvw 12 mb 0 tt1 12 r 0
v_accvgpr_read_b32 v7, acc131                      // glvw 12 mb 0 tt1 12 r 0
v_accvgpr_read_b32 v8, acc195                      // glvw 12 mb 0 tt1 12 r 0
s_nop 1                                            // v_accvgpr read vgpr after write vgpr: 2 wait states
ds_bpermute_b32 v5, v0, v5, offset:4               // permute edge values
ds_bpermute_b32 v6, v0, v6, offset:4               // permute edge values
	;; [unrolled: 1-line block ×4, first 2 shown]
s_waitcnt 0                                        // wait for swizzle operation
v_accvgpr_write_b32 acc3, v5                       // 
v_accvgpr_write_b32 acc67, v6                      // 
v_accvgpr_write_b32 acc131, v7                     // 
v_accvgpr_write_b32 acc195, v8                     // 
v_accvgpr_read_b32 v5, acc19                       // glvw 12 mb 0 tt1 13 r 0
v_accvgpr_read_b32 v6, acc83                       // glvw 12 mb 0 tt1 13 r 0
v_accvgpr_read_b32 v7, acc147                      // glvw 12 mb 0 tt1 13 r 0
v_accvgpr_read_b32 v8, acc211                      // glvw 12 mb 0 tt1 13 r 0
s_nop 1                                            // v_accvgpr read vgpr after write vgpr: 2 wait states
ds_bpermute_b32 v5, v0, v5, offset:4               // permute edge values
ds_bpermute_b32 v6, v0, v6, offset:4               // permute edge values
	;; [unrolled: 1-line block ×4, first 2 shown]
s_waitcnt 0                                        // wait for swizzle operation
v_accvgpr_write_b32 acc19, v5                      // 
v_accvgpr_write_b32 acc83, v6                      // 
v_accvgpr_write_b32 acc147, v7                     // 
v_accvgpr_write_b32 acc211, v8                     // 
v_accvgpr_read_b32 v5, acc35                       // glvw 12 mb 0 tt1 14 r 0
v_accvgpr_read_b32 v6, acc99                       // glvw 12 mb 0 tt1 14 r 0
v_accvgpr_read_b32 v7, acc163                      // glvw 12 mb 0 tt1 14 r 0
v_accvgpr_read_b32 v8, acc227                      // glvw 12 mb 0 tt1 14 r 0
s_nop 1                                            // v_accvgpr read vgpr after write vgpr: 2 wait states
ds_bpermute_b32 v5, v0, v5, offset:4               // permute edge values
ds_bpermute_b32 v6, v0, v6, offset:4               // permute edge values
	;; [unrolled: 1-line block ×4, first 2 shown]
s_waitcnt 0                                        // wait for swizzle operation
v_accvgpr_write_b32 acc35, v5                      // 
v_accvgpr_write_b32 acc99, v6                      // 
v_accvgpr_write_b32 acc163, v7                     // 
v_accvgpr_write_b32 acc227, v8                     // 
v_accvgpr_read_b32 v5, acc51                       // glvw 12 mb 0 tt1 15 r 0
v_accvgpr_read_b32 v6, acc115                      // glvw 12 mb 0 tt1 15 r 0
v_accvgpr_read_b32 v7, acc179                      // glvw 12 mb 0 tt1 15 r 0
v_accvgpr_read_b32 v8, acc243                      // glvw 12 mb 0 tt1 15 r 0
s_nop 1                                            // v_accvgpr read vgpr after write vgpr: 2 wait states
ds_bpermute_b32 v5, v0, v5, offset:4               // permute edge values
ds_bpermute_b32 v6, v0, v6, offset:4               // permute edge values
	;; [unrolled: 1-line block ×4, first 2 shown]
s_waitcnt 0                                        // wait for swizzle operation
v_accvgpr_write_b32 acc51, v5                      // 
v_accvgpr_write_b32 acc115, v6                     // 
v_accvgpr_write_b32 acc179, v7                     // 
v_accvgpr_write_b32 acc243, v8                     // 
v_accvgpr_read_b32 v5, acc4                        // glvw 12 mb 0 tt1 16 r 0
v_accvgpr_read_b32 v6, acc68                       // glvw 12 mb 0 tt1 16 r 0
v_accvgpr_read_b32 v7, acc132                      // glvw 12 mb 0 tt1 16 r 0
v_accvgpr_read_b32 v8, acc196                      // glvw 12 mb 0 tt1 16 r 0
s_nop 1                                            // v_accvgpr read vgpr after write vgpr: 2 wait states
ds_bpermute_b32 v5, v0, v5, offset:4               // permute edge values
ds_bpermute_b32 v6, v0, v6, offset:4               // permute edge values
	;; [unrolled: 1-line block ×4, first 2 shown]
s_waitcnt 0                                        // wait for swizzle operation
v_accvgpr_write_b32 acc4, v5                       // 
v_accvgpr_write_b32 acc68, v6                      // 
v_accvgpr_write_b32 acc132, v7                     // 
v_accvgpr_write_b32 acc196, v8                     // 
v_accvgpr_read_b32 v5, acc20                       // glvw 12 mb 0 tt1 17 r 0
v_accvgpr_read_b32 v6, acc84                       // glvw 12 mb 0 tt1 17 r 0
v_accvgpr_read_b32 v7, acc148                      // glvw 12 mb 0 tt1 17 r 0
v_accvgpr_read_b32 v8, acc212                      // glvw 12 mb 0 tt1 17 r 0
s_nop 1                                            // v_accvgpr read vgpr after write vgpr: 2 wait states
ds_bpermute_b32 v5, v0, v5, offset:4               // permute edge values
ds_bpermute_b32 v6, v0, v6, offset:4               // permute edge values
	;; [unrolled: 1-line block ×4, first 2 shown]
s_waitcnt 0                                        // wait for swizzle operation
v_accvgpr_write_b32 acc20, v5                      // 
v_accvgpr_write_b32 acc84, v6                      // 
v_accvgpr_write_b32 acc148, v7                     // 
v_accvgpr_write_b32 acc212, v8                     // 
v_accvgpr_read_b32 v5, acc36                       // glvw 12 mb 0 tt1 18 r 0
v_accvgpr_read_b32 v6, acc100                      // glvw 12 mb 0 tt1 18 r 0
v_accvgpr_read_b32 v7, acc164                      // glvw 12 mb 0 tt1 18 r 0
v_accvgpr_read_b32 v8, acc228                      // glvw 12 mb 0 tt1 18 r 0
s_nop 1                                            // v_accvgpr read vgpr after write vgpr: 2 wait states
ds_bpermute_b32 v5, v0, v5, offset:4               // permute edge values
ds_bpermute_b32 v6, v0, v6, offset:4               // permute edge values
	;; [unrolled: 1-line block ×4, first 2 shown]
s_waitcnt 0                                        // wait for swizzle operation
v_accvgpr_write_b32 acc36, v5                      // 
v_accvgpr_write_b32 acc100, v6                     // 
v_accvgpr_write_b32 acc164, v7                     // 
v_accvgpr_write_b32 acc228, v8                     // 
v_accvgpr_read_b32 v5, acc52                       // glvw 12 mb 0 tt1 19 r 0
v_accvgpr_read_b32 v6, acc116                      // glvw 12 mb 0 tt1 19 r 0
v_accvgpr_read_b32 v7, acc180                      // glvw 12 mb 0 tt1 19 r 0
v_accvgpr_read_b32 v8, acc244                      // glvw 12 mb 0 tt1 19 r 0
s_nop 1                                            // v_accvgpr read vgpr after write vgpr: 2 wait states
ds_bpermute_b32 v5, v0, v5, offset:4               // permute edge values
ds_bpermute_b32 v6, v0, v6, offset:4               // permute edge values
	;; [unrolled: 1-line block ×4, first 2 shown]
s_waitcnt 0                                        // wait for swizzle operation
v_accvgpr_write_b32 acc52, v5                      // 
v_accvgpr_write_b32 acc116, v6                     // 
v_accvgpr_write_b32 acc180, v7                     // 
v_accvgpr_write_b32 acc244, v8                     // 
v_accvgpr_read_b32 v5, acc5                        // glvw 12 mb 0 tt1 20 r 0
v_accvgpr_read_b32 v6, acc69                       // glvw 12 mb 0 tt1 20 r 0
v_accvgpr_read_b32 v7, acc133                      // glvw 12 mb 0 tt1 20 r 0
v_accvgpr_read_b32 v8, acc197                      // glvw 12 mb 0 tt1 20 r 0
s_nop 1                                            // v_accvgpr read vgpr after write vgpr: 2 wait states
ds_bpermute_b32 v5, v0, v5, offset:4               // permute edge values
ds_bpermute_b32 v6, v0, v6, offset:4               // permute edge values
ds_bpermute_b32 v7, v0, v7, offset:4               // permute edge values
ds_bpermute_b32 v8, v0, v8, offset:4               // permute edge values
s_waitcnt 0                                        // wait for swizzle operation
v_accvgpr_write_b32 acc5, v5                       // 
v_accvgpr_write_b32 acc69, v6                      // 
v_accvgpr_write_b32 acc133, v7                     // 
v_accvgpr_write_b32 acc197, v8                     // 
v_accvgpr_read_b32 v5, acc21                       // glvw 12 mb 0 tt1 21 r 0
v_accvgpr_read_b32 v6, acc85                       // glvw 12 mb 0 tt1 21 r 0
v_accvgpr_read_b32 v7, acc149                      // glvw 12 mb 0 tt1 21 r 0
v_accvgpr_read_b32 v8, acc213                      // glvw 12 mb 0 tt1 21 r 0
s_nop 1                                            // v_accvgpr read vgpr after write vgpr: 2 wait states
ds_bpermute_b32 v5, v0, v5, offset:4               // permute edge values
ds_bpermute_b32 v6, v0, v6, offset:4               // permute edge values
	;; [unrolled: 1-line block ×4, first 2 shown]
s_waitcnt 0                                        // wait for swizzle operation
v_accvgpr_write_b32 acc21, v5                      // 
v_accvgpr_write_b32 acc85, v6                      // 
v_accvgpr_write_b32 acc149, v7                     // 
v_accvgpr_write_b32 acc213, v8                     // 
v_accvgpr_read_b32 v5, acc37                       // glvw 12 mb 0 tt1 22 r 0
v_accvgpr_read_b32 v6, acc101                      // glvw 12 mb 0 tt1 22 r 0
v_accvgpr_read_b32 v7, acc165                      // glvw 12 mb 0 tt1 22 r 0
v_accvgpr_read_b32 v8, acc229                      // glvw 12 mb 0 tt1 22 r 0
s_nop 1                                            // v_accvgpr read vgpr after write vgpr: 2 wait states
ds_bpermute_b32 v5, v0, v5, offset:4               // permute edge values
ds_bpermute_b32 v6, v0, v6, offset:4               // permute edge values
	;; [unrolled: 1-line block ×4, first 2 shown]
s_waitcnt 0                                        // wait for swizzle operation
v_accvgpr_write_b32 acc37, v5                      // 
v_accvgpr_write_b32 acc101, v6                     // 
v_accvgpr_write_b32 acc165, v7                     // 
v_accvgpr_write_b32 acc229, v8                     // 
v_accvgpr_read_b32 v5, acc53                       // glvw 12 mb 0 tt1 23 r 0
v_accvgpr_read_b32 v6, acc117                      // glvw 12 mb 0 tt1 23 r 0
v_accvgpr_read_b32 v7, acc181                      // glvw 12 mb 0 tt1 23 r 0
v_accvgpr_read_b32 v8, acc245                      // glvw 12 mb 0 tt1 23 r 0
s_nop 1                                            // v_accvgpr read vgpr after write vgpr: 2 wait states
ds_bpermute_b32 v5, v0, v5, offset:4               // permute edge values
ds_bpermute_b32 v6, v0, v6, offset:4               // permute edge values
ds_bpermute_b32 v7, v0, v7, offset:4               // permute edge values
ds_bpermute_b32 v8, v0, v8, offset:4               // permute edge values
s_waitcnt 0                                        // wait for swizzle operation
v_accvgpr_write_b32 acc53, v5                      // 
v_accvgpr_write_b32 acc117, v6                     // 
v_accvgpr_write_b32 acc181, v7                     // 
v_accvgpr_write_b32 acc245, v8                     // 
v_accvgpr_read_b32 v5, acc6                        // glvw 12 mb 0 tt1 24 r 0
v_accvgpr_read_b32 v6, acc70                       // glvw 12 mb 0 tt1 24 r 0
v_accvgpr_read_b32 v7, acc134                      // glvw 12 mb 0 tt1 24 r 0
v_accvgpr_read_b32 v8, acc198                      // glvw 12 mb 0 tt1 24 r 0
s_nop 1                                            // v_accvgpr read vgpr after write vgpr: 2 wait states
ds_bpermute_b32 v5, v0, v5, offset:4               // permute edge values
ds_bpermute_b32 v6, v0, v6, offset:4               // permute edge values
	;; [unrolled: 1-line block ×4, first 2 shown]
s_waitcnt 0                                        // wait for swizzle operation
v_accvgpr_write_b32 acc6, v5                       // 
v_accvgpr_write_b32 acc70, v6                      // 
v_accvgpr_write_b32 acc134, v7                     // 
v_accvgpr_write_b32 acc198, v8                     // 
v_accvgpr_read_b32 v5, acc22                       // glvw 12 mb 0 tt1 25 r 0
v_accvgpr_read_b32 v6, acc86                       // glvw 12 mb 0 tt1 25 r 0
v_accvgpr_read_b32 v7, acc150                      // glvw 12 mb 0 tt1 25 r 0
v_accvgpr_read_b32 v8, acc214                      // glvw 12 mb 0 tt1 25 r 0
s_nop 1                                            // v_accvgpr read vgpr after write vgpr: 2 wait states
ds_bpermute_b32 v5, v0, v5, offset:4               // permute edge values
ds_bpermute_b32 v6, v0, v6, offset:4               // permute edge values
	;; [unrolled: 1-line block ×4, first 2 shown]
s_waitcnt 0                                        // wait for swizzle operation
v_accvgpr_write_b32 acc22, v5                      // 
v_accvgpr_write_b32 acc86, v6                      // 
v_accvgpr_write_b32 acc150, v7                     // 
v_accvgpr_write_b32 acc214, v8                     // 
v_accvgpr_read_b32 v5, acc38                       // glvw 12 mb 0 tt1 26 r 0
v_accvgpr_read_b32 v6, acc102                      // glvw 12 mb 0 tt1 26 r 0
v_accvgpr_read_b32 v7, acc166                      // glvw 12 mb 0 tt1 26 r 0
v_accvgpr_read_b32 v8, acc230                      // glvw 12 mb 0 tt1 26 r 0
s_nop 1                                            // v_accvgpr read vgpr after write vgpr: 2 wait states
ds_bpermute_b32 v5, v0, v5, offset:4               // permute edge values
ds_bpermute_b32 v6, v0, v6, offset:4               // permute edge values
	;; [unrolled: 1-line block ×4, first 2 shown]
s_waitcnt 0                                        // wait for swizzle operation
v_accvgpr_write_b32 acc38, v5                      // 
v_accvgpr_write_b32 acc102, v6                     // 
v_accvgpr_write_b32 acc166, v7                     // 
v_accvgpr_write_b32 acc230, v8                     // 
v_accvgpr_read_b32 v5, acc54                       // glvw 12 mb 0 tt1 27 r 0
v_accvgpr_read_b32 v6, acc118                      // glvw 12 mb 0 tt1 27 r 0
v_accvgpr_read_b32 v7, acc182                      // glvw 12 mb 0 tt1 27 r 0
v_accvgpr_read_b32 v8, acc246                      // glvw 12 mb 0 tt1 27 r 0
s_nop 1                                            // v_accvgpr read vgpr after write vgpr: 2 wait states
ds_bpermute_b32 v5, v0, v5, offset:4               // permute edge values
ds_bpermute_b32 v6, v0, v6, offset:4               // permute edge values
	;; [unrolled: 1-line block ×4, first 2 shown]
s_waitcnt 0                                        // wait for swizzle operation
v_accvgpr_write_b32 acc54, v5                      // 
v_accvgpr_write_b32 acc118, v6                     // 
v_accvgpr_write_b32 acc182, v7                     // 
v_accvgpr_write_b32 acc246, v8                     // 
v_accvgpr_read_b32 v5, acc7                        // glvw 12 mb 0 tt1 28 r 0
v_accvgpr_read_b32 v6, acc71                       // glvw 12 mb 0 tt1 28 r 0
v_accvgpr_read_b32 v7, acc135                      // glvw 12 mb 0 tt1 28 r 0
v_accvgpr_read_b32 v8, acc199                      // glvw 12 mb 0 tt1 28 r 0
s_nop 1                                            // v_accvgpr read vgpr after write vgpr: 2 wait states
ds_bpermute_b32 v5, v0, v5, offset:4               // permute edge values
ds_bpermute_b32 v6, v0, v6, offset:4               // permute edge values
	;; [unrolled: 1-line block ×4, first 2 shown]
s_waitcnt 0                                        // wait for swizzle operation
v_accvgpr_write_b32 acc7, v5                       // 
v_accvgpr_write_b32 acc71, v6                      // 
v_accvgpr_write_b32 acc135, v7                     // 
v_accvgpr_write_b32 acc199, v8                     // 
v_accvgpr_read_b32 v5, acc23                       // glvw 12 mb 0 tt1 29 r 0
v_accvgpr_read_b32 v6, acc87                       // glvw 12 mb 0 tt1 29 r 0
v_accvgpr_read_b32 v7, acc151                      // glvw 12 mb 0 tt1 29 r 0
v_accvgpr_read_b32 v8, acc215                      // glvw 12 mb 0 tt1 29 r 0
s_nop 1                                            // v_accvgpr read vgpr after write vgpr: 2 wait states
ds_bpermute_b32 v5, v0, v5, offset:4               // permute edge values
ds_bpermute_b32 v6, v0, v6, offset:4               // permute edge values
	;; [unrolled: 1-line block ×4, first 2 shown]
s_waitcnt 0                                        // wait for swizzle operation
v_accvgpr_write_b32 acc23, v5                      // 
v_accvgpr_write_b32 acc87, v6                      // 
v_accvgpr_write_b32 acc151, v7                     // 
v_accvgpr_write_b32 acc215, v8                     // 
v_accvgpr_read_b32 v5, acc39                       // glvw 12 mb 0 tt1 30 r 0
v_accvgpr_read_b32 v6, acc103                      // glvw 12 mb 0 tt1 30 r 0
v_accvgpr_read_b32 v7, acc167                      // glvw 12 mb 0 tt1 30 r 0
v_accvgpr_read_b32 v8, acc231                      // glvw 12 mb 0 tt1 30 r 0
s_nop 1                                            // v_accvgpr read vgpr after write vgpr: 2 wait states
ds_bpermute_b32 v5, v0, v5, offset:4               // permute edge values
ds_bpermute_b32 v6, v0, v6, offset:4               // permute edge values
	;; [unrolled: 1-line block ×4, first 2 shown]
s_waitcnt 0                                        // wait for swizzle operation
v_accvgpr_write_b32 acc39, v5                      // 
v_accvgpr_write_b32 acc103, v6                     // 
v_accvgpr_write_b32 acc167, v7                     // 
v_accvgpr_write_b32 acc231, v8                     // 
v_accvgpr_read_b32 v5, acc55                       // glvw 12 mb 0 tt1 31 r 0
v_accvgpr_read_b32 v6, acc119                      // glvw 12 mb 0 tt1 31 r 0
v_accvgpr_read_b32 v7, acc183                      // glvw 12 mb 0 tt1 31 r 0
v_accvgpr_read_b32 v8, acc247                      // glvw 12 mb 0 tt1 31 r 0
s_nop 1                                            // v_accvgpr read vgpr after write vgpr: 2 wait states
ds_bpermute_b32 v5, v0, v5, offset:4               // permute edge values
ds_bpermute_b32 v6, v0, v6, offset:4               // permute edge values
	;; [unrolled: 1-line block ×4, first 2 shown]
s_waitcnt 0                                        // wait for swizzle operation
v_accvgpr_write_b32 acc55, v5                      // 
v_accvgpr_write_b32 acc119, v6                     // 
v_accvgpr_write_b32 acc183, v7                     // 
v_accvgpr_write_b32 acc247, v8                     // 
v_accvgpr_read_b32 v5, acc8                        // glvw 12 mb 0 tt1 32 r 0
v_accvgpr_read_b32 v6, acc72                       // glvw 12 mb 0 tt1 32 r 0
v_accvgpr_read_b32 v7, acc136                      // glvw 12 mb 0 tt1 32 r 0
v_accvgpr_read_b32 v8, acc200                      // glvw 12 mb 0 tt1 32 r 0
s_nop 1                                            // v_accvgpr read vgpr after write vgpr: 2 wait states
ds_bpermute_b32 v5, v0, v5, offset:4               // permute edge values
ds_bpermute_b32 v6, v0, v6, offset:4               // permute edge values
	;; [unrolled: 1-line block ×4, first 2 shown]
s_waitcnt 0                                        // wait for swizzle operation
v_accvgpr_write_b32 acc8, v5                       // 
v_accvgpr_write_b32 acc72, v6                      // 
v_accvgpr_write_b32 acc136, v7                     // 
v_accvgpr_write_b32 acc200, v8                     // 
v_accvgpr_read_b32 v5, acc24                       // glvw 12 mb 0 tt1 33 r 0
v_accvgpr_read_b32 v6, acc88                       // glvw 12 mb 0 tt1 33 r 0
v_accvgpr_read_b32 v7, acc152                      // glvw 12 mb 0 tt1 33 r 0
v_accvgpr_read_b32 v8, acc216                      // glvw 12 mb 0 tt1 33 r 0
s_nop 1                                            // v_accvgpr read vgpr after write vgpr: 2 wait states
ds_bpermute_b32 v5, v0, v5, offset:4               // permute edge values
ds_bpermute_b32 v6, v0, v6, offset:4               // permute edge values
	;; [unrolled: 1-line block ×4, first 2 shown]
s_waitcnt 0                                        // wait for swizzle operation
v_accvgpr_write_b32 acc24, v5                      // 
v_accvgpr_write_b32 acc88, v6                      // 
v_accvgpr_write_b32 acc152, v7                     // 
v_accvgpr_write_b32 acc216, v8                     // 
v_accvgpr_read_b32 v5, acc40                       // glvw 12 mb 0 tt1 34 r 0
v_accvgpr_read_b32 v6, acc104                      // glvw 12 mb 0 tt1 34 r 0
v_accvgpr_read_b32 v7, acc168                      // glvw 12 mb 0 tt1 34 r 0
v_accvgpr_read_b32 v8, acc232                      // glvw 12 mb 0 tt1 34 r 0
s_nop 1                                            // v_accvgpr read vgpr after write vgpr: 2 wait states
ds_bpermute_b32 v5, v0, v5, offset:4               // permute edge values
ds_bpermute_b32 v6, v0, v6, offset:4               // permute edge values
	;; [unrolled: 1-line block ×4, first 2 shown]
s_waitcnt 0                                        // wait for swizzle operation
v_accvgpr_write_b32 acc40, v5                      // 
v_accvgpr_write_b32 acc104, v6                     // 
v_accvgpr_write_b32 acc168, v7                     // 
v_accvgpr_write_b32 acc232, v8                     // 
v_accvgpr_read_b32 v5, acc56                       // glvw 12 mb 0 tt1 35 r 0
v_accvgpr_read_b32 v6, acc120                      // glvw 12 mb 0 tt1 35 r 0
v_accvgpr_read_b32 v7, acc184                      // glvw 12 mb 0 tt1 35 r 0
v_accvgpr_read_b32 v8, acc248                      // glvw 12 mb 0 tt1 35 r 0
s_nop 1                                            // v_accvgpr read vgpr after write vgpr: 2 wait states
ds_bpermute_b32 v5, v0, v5, offset:4               // permute edge values
ds_bpermute_b32 v6, v0, v6, offset:4               // permute edge values
	;; [unrolled: 1-line block ×4, first 2 shown]
s_waitcnt 0                                        // wait for swizzle operation
v_accvgpr_write_b32 acc56, v5                      // 
v_accvgpr_write_b32 acc120, v6                     // 
v_accvgpr_write_b32 acc184, v7                     // 
v_accvgpr_write_b32 acc248, v8                     // 
v_accvgpr_read_b32 v5, acc9                        // glvw 12 mb 0 tt1 36 r 0
v_accvgpr_read_b32 v6, acc73                       // glvw 12 mb 0 tt1 36 r 0
v_accvgpr_read_b32 v7, acc137                      // glvw 12 mb 0 tt1 36 r 0
v_accvgpr_read_b32 v8, acc201                      // glvw 12 mb 0 tt1 36 r 0
s_nop 1                                            // v_accvgpr read vgpr after write vgpr: 2 wait states
ds_bpermute_b32 v5, v0, v5, offset:4               // permute edge values
ds_bpermute_b32 v6, v0, v6, offset:4               // permute edge values
	;; [unrolled: 1-line block ×4, first 2 shown]
s_waitcnt 0                                        // wait for swizzle operation
v_accvgpr_write_b32 acc9, v5                       // 
v_accvgpr_write_b32 acc73, v6                      // 
v_accvgpr_write_b32 acc137, v7                     // 
v_accvgpr_write_b32 acc201, v8                     // 
v_accvgpr_read_b32 v5, acc25                       // glvw 12 mb 0 tt1 37 r 0
v_accvgpr_read_b32 v6, acc89                       // glvw 12 mb 0 tt1 37 r 0
v_accvgpr_read_b32 v7, acc153                      // glvw 12 mb 0 tt1 37 r 0
v_accvgpr_read_b32 v8, acc217                      // glvw 12 mb 0 tt1 37 r 0
s_nop 1                                            // v_accvgpr read vgpr after write vgpr: 2 wait states
ds_bpermute_b32 v5, v0, v5, offset:4               // permute edge values
ds_bpermute_b32 v6, v0, v6, offset:4               // permute edge values
	;; [unrolled: 1-line block ×4, first 2 shown]
s_waitcnt 0                                        // wait for swizzle operation
v_accvgpr_write_b32 acc25, v5                      // 
v_accvgpr_write_b32 acc89, v6                      // 
v_accvgpr_write_b32 acc153, v7                     // 
v_accvgpr_write_b32 acc217, v8                     // 
v_accvgpr_read_b32 v5, acc41                       // glvw 12 mb 0 tt1 38 r 0
v_accvgpr_read_b32 v6, acc105                      // glvw 12 mb 0 tt1 38 r 0
v_accvgpr_read_b32 v7, acc169                      // glvw 12 mb 0 tt1 38 r 0
v_accvgpr_read_b32 v8, acc233                      // glvw 12 mb 0 tt1 38 r 0
s_nop 1                                            // v_accvgpr read vgpr after write vgpr: 2 wait states
ds_bpermute_b32 v5, v0, v5, offset:4               // permute edge values
ds_bpermute_b32 v6, v0, v6, offset:4               // permute edge values
	;; [unrolled: 1-line block ×4, first 2 shown]
s_waitcnt 0                                        // wait for swizzle operation
v_accvgpr_write_b32 acc41, v5                      // 
v_accvgpr_write_b32 acc105, v6                     // 
v_accvgpr_write_b32 acc169, v7                     // 
v_accvgpr_write_b32 acc233, v8                     // 
v_accvgpr_read_b32 v5, acc57                       // glvw 12 mb 0 tt1 39 r 0
v_accvgpr_read_b32 v6, acc121                      // glvw 12 mb 0 tt1 39 r 0
v_accvgpr_read_b32 v7, acc185                      // glvw 12 mb 0 tt1 39 r 0
v_accvgpr_read_b32 v8, acc249                      // glvw 12 mb 0 tt1 39 r 0
s_nop 1                                            // v_accvgpr read vgpr after write vgpr: 2 wait states
ds_bpermute_b32 v5, v0, v5, offset:4               // permute edge values
ds_bpermute_b32 v6, v0, v6, offset:4               // permute edge values
ds_bpermute_b32 v7, v0, v7, offset:4               // permute edge values
ds_bpermute_b32 v8, v0, v8, offset:4               // permute edge values
s_waitcnt 0                                        // wait for swizzle operation
v_accvgpr_write_b32 acc57, v5                      // 
v_accvgpr_write_b32 acc121, v6                     // 
v_accvgpr_write_b32 acc185, v7                     // 
v_accvgpr_write_b32 acc249, v8                     // 
v_accvgpr_read_b32 v5, acc10                       // glvw 12 mb 0 tt1 40 r 0
v_accvgpr_read_b32 v6, acc74                       // glvw 12 mb 0 tt1 40 r 0
v_accvgpr_read_b32 v7, acc138                      // glvw 12 mb 0 tt1 40 r 0
v_accvgpr_read_b32 v8, acc202                      // glvw 12 mb 0 tt1 40 r 0
s_nop 1                                            // v_accvgpr read vgpr after write vgpr: 2 wait states
ds_bpermute_b32 v5, v0, v5, offset:4               // permute edge values
ds_bpermute_b32 v6, v0, v6, offset:4               // permute edge values
	;; [unrolled: 1-line block ×4, first 2 shown]
s_waitcnt 0                                        // wait for swizzle operation
v_accvgpr_write_b32 acc10, v5                      // 
v_accvgpr_write_b32 acc74, v6                      // 
v_accvgpr_write_b32 acc138, v7                     // 
v_accvgpr_write_b32 acc202, v8                     // 
v_accvgpr_read_b32 v5, acc26                       // glvw 12 mb 0 tt1 41 r 0
v_accvgpr_read_b32 v6, acc90                       // glvw 12 mb 0 tt1 41 r 0
v_accvgpr_read_b32 v7, acc154                      // glvw 12 mb 0 tt1 41 r 0
v_accvgpr_read_b32 v8, acc218                      // glvw 12 mb 0 tt1 41 r 0
s_nop 1                                            // v_accvgpr read vgpr after write vgpr: 2 wait states
ds_bpermute_b32 v5, v0, v5, offset:4               // permute edge values
ds_bpermute_b32 v6, v0, v6, offset:4               // permute edge values
	;; [unrolled: 1-line block ×4, first 2 shown]
s_waitcnt 0                                        // wait for swizzle operation
v_accvgpr_write_b32 acc26, v5                      // 
v_accvgpr_write_b32 acc90, v6                      // 
v_accvgpr_write_b32 acc154, v7                     // 
v_accvgpr_write_b32 acc218, v8                     // 
v_accvgpr_read_b32 v5, acc42                       // glvw 12 mb 0 tt1 42 r 0
v_accvgpr_read_b32 v6, acc106                      // glvw 12 mb 0 tt1 42 r 0
v_accvgpr_read_b32 v7, acc170                      // glvw 12 mb 0 tt1 42 r 0
v_accvgpr_read_b32 v8, acc234                      // glvw 12 mb 0 tt1 42 r 0
s_nop 1                                            // v_accvgpr read vgpr after write vgpr: 2 wait states
ds_bpermute_b32 v5, v0, v5, offset:4               // permute edge values
ds_bpermute_b32 v6, v0, v6, offset:4               // permute edge values
	;; [unrolled: 1-line block ×4, first 2 shown]
s_waitcnt 0                                        // wait for swizzle operation
v_accvgpr_write_b32 acc42, v5                      // 
v_accvgpr_write_b32 acc106, v6                     // 
v_accvgpr_write_b32 acc170, v7                     // 
v_accvgpr_write_b32 acc234, v8                     // 
v_accvgpr_read_b32 v5, acc58                       // glvw 12 mb 0 tt1 43 r 0
v_accvgpr_read_b32 v6, acc122                      // glvw 12 mb 0 tt1 43 r 0
v_accvgpr_read_b32 v7, acc186                      // glvw 12 mb 0 tt1 43 r 0
v_accvgpr_read_b32 v8, acc250                      // glvw 12 mb 0 tt1 43 r 0
s_nop 1                                            // v_accvgpr read vgpr after write vgpr: 2 wait states
ds_bpermute_b32 v5, v0, v5, offset:4               // permute edge values
ds_bpermute_b32 v6, v0, v6, offset:4               // permute edge values
	;; [unrolled: 1-line block ×4, first 2 shown]
s_waitcnt 0                                        // wait for swizzle operation
v_accvgpr_write_b32 acc58, v5                      // 
v_accvgpr_write_b32 acc122, v6                     // 
v_accvgpr_write_b32 acc186, v7                     // 
v_accvgpr_write_b32 acc250, v8                     // 
v_accvgpr_read_b32 v5, acc11                       // glvw 12 mb 0 tt1 44 r 0
v_accvgpr_read_b32 v6, acc75                       // glvw 12 mb 0 tt1 44 r 0
v_accvgpr_read_b32 v7, acc139                      // glvw 12 mb 0 tt1 44 r 0
v_accvgpr_read_b32 v8, acc203                      // glvw 12 mb 0 tt1 44 r 0
s_nop 1                                            // v_accvgpr read vgpr after write vgpr: 2 wait states
ds_bpermute_b32 v5, v0, v5, offset:4               // permute edge values
ds_bpermute_b32 v6, v0, v6, offset:4               // permute edge values
	;; [unrolled: 1-line block ×4, first 2 shown]
s_waitcnt 0                                        // wait for swizzle operation
v_accvgpr_write_b32 acc11, v5                      // 
v_accvgpr_write_b32 acc75, v6                      // 
v_accvgpr_write_b32 acc139, v7                     // 
v_accvgpr_write_b32 acc203, v8                     // 
v_accvgpr_read_b32 v5, acc27                       // glvw 12 mb 0 tt1 45 r 0
v_accvgpr_read_b32 v6, acc91                       // glvw 12 mb 0 tt1 45 r 0
v_accvgpr_read_b32 v7, acc155                      // glvw 12 mb 0 tt1 45 r 0
v_accvgpr_read_b32 v8, acc219                      // glvw 12 mb 0 tt1 45 r 0
s_nop 1                                            // v_accvgpr read vgpr after write vgpr: 2 wait states
ds_bpermute_b32 v5, v0, v5, offset:4               // permute edge values
ds_bpermute_b32 v6, v0, v6, offset:4               // permute edge values
	;; [unrolled: 1-line block ×4, first 2 shown]
s_waitcnt 0                                        // wait for swizzle operation
v_accvgpr_write_b32 acc27, v5                      // 
v_accvgpr_write_b32 acc91, v6                      // 
v_accvgpr_write_b32 acc155, v7                     // 
v_accvgpr_write_b32 acc219, v8                     // 
v_accvgpr_read_b32 v5, acc43                       // glvw 12 mb 0 tt1 46 r 0
v_accvgpr_read_b32 v6, acc107                      // glvw 12 mb 0 tt1 46 r 0
v_accvgpr_read_b32 v7, acc171                      // glvw 12 mb 0 tt1 46 r 0
v_accvgpr_read_b32 v8, acc235                      // glvw 12 mb 0 tt1 46 r 0
s_nop 1                                            // v_accvgpr read vgpr after write vgpr: 2 wait states
ds_bpermute_b32 v5, v0, v5, offset:4               // permute edge values
ds_bpermute_b32 v6, v0, v6, offset:4               // permute edge values
	;; [unrolled: 1-line block ×4, first 2 shown]
s_waitcnt 0                                        // wait for swizzle operation
v_accvgpr_write_b32 acc43, v5                      // 
v_accvgpr_write_b32 acc107, v6                     // 
v_accvgpr_write_b32 acc171, v7                     // 
v_accvgpr_write_b32 acc235, v8                     // 
v_accvgpr_read_b32 v5, acc59                       // glvw 12 mb 0 tt1 47 r 0
v_accvgpr_read_b32 v6, acc123                      // glvw 12 mb 0 tt1 47 r 0
v_accvgpr_read_b32 v7, acc187                      // glvw 12 mb 0 tt1 47 r 0
v_accvgpr_read_b32 v8, acc251                      // glvw 12 mb 0 tt1 47 r 0
s_nop 1                                            // v_accvgpr read vgpr after write vgpr: 2 wait states
ds_bpermute_b32 v5, v0, v5, offset:4               // permute edge values
ds_bpermute_b32 v6, v0, v6, offset:4               // permute edge values
	;; [unrolled: 1-line block ×4, first 2 shown]
s_waitcnt 0                                        // wait for swizzle operation
v_accvgpr_write_b32 acc59, v5                      // 
v_accvgpr_write_b32 acc123, v6                     // 
v_accvgpr_write_b32 acc187, v7                     // 
v_accvgpr_write_b32 acc251, v8                     // 
v_accvgpr_read_b32 v5, acc12                       // glvw 12 mb 0 tt1 48 r 0
v_accvgpr_read_b32 v6, acc76                       // glvw 12 mb 0 tt1 48 r 0
v_accvgpr_read_b32 v7, acc140                      // glvw 12 mb 0 tt1 48 r 0
v_accvgpr_read_b32 v8, acc204                      // glvw 12 mb 0 tt1 48 r 0
s_nop 1                                            // v_accvgpr read vgpr after write vgpr: 2 wait states
ds_bpermute_b32 v5, v0, v5, offset:4               // permute edge values
ds_bpermute_b32 v6, v0, v6, offset:4               // permute edge values
	;; [unrolled: 1-line block ×4, first 2 shown]
s_waitcnt 0                                        // wait for swizzle operation
v_accvgpr_write_b32 acc12, v5                      // 
v_accvgpr_write_b32 acc76, v6                      // 
v_accvgpr_write_b32 acc140, v7                     // 
v_accvgpr_write_b32 acc204, v8                     // 
v_accvgpr_read_b32 v5, acc28                       // glvw 12 mb 0 tt1 49 r 0
v_accvgpr_read_b32 v6, acc92                       // glvw 12 mb 0 tt1 49 r 0
v_accvgpr_read_b32 v7, acc156                      // glvw 12 mb 0 tt1 49 r 0
v_accvgpr_read_b32 v8, acc220                      // glvw 12 mb 0 tt1 49 r 0
s_nop 1                                            // v_accvgpr read vgpr after write vgpr: 2 wait states
ds_bpermute_b32 v5, v0, v5, offset:4               // permute edge values
ds_bpermute_b32 v6, v0, v6, offset:4               // permute edge values
	;; [unrolled: 1-line block ×4, first 2 shown]
s_waitcnt 0                                        // wait for swizzle operation
v_accvgpr_write_b32 acc28, v5                      // 
v_accvgpr_write_b32 acc92, v6                      // 
v_accvgpr_write_b32 acc156, v7                     // 
v_accvgpr_write_b32 acc220, v8                     // 
v_accvgpr_read_b32 v5, acc44                       // glvw 12 mb 0 tt1 50 r 0
v_accvgpr_read_b32 v6, acc108                      // glvw 12 mb 0 tt1 50 r 0
v_accvgpr_read_b32 v7, acc172                      // glvw 12 mb 0 tt1 50 r 0
v_accvgpr_read_b32 v8, acc236                      // glvw 12 mb 0 tt1 50 r 0
s_nop 1                                            // v_accvgpr read vgpr after write vgpr: 2 wait states
ds_bpermute_b32 v5, v0, v5, offset:4               // permute edge values
ds_bpermute_b32 v6, v0, v6, offset:4               // permute edge values
	;; [unrolled: 1-line block ×4, first 2 shown]
s_waitcnt 0                                        // wait for swizzle operation
v_accvgpr_write_b32 acc44, v5                      // 
v_accvgpr_write_b32 acc108, v6                     // 
v_accvgpr_write_b32 acc172, v7                     // 
v_accvgpr_write_b32 acc236, v8                     // 
v_accvgpr_read_b32 v5, acc60                       // glvw 12 mb 0 tt1 51 r 0
v_accvgpr_read_b32 v6, acc124                      // glvw 12 mb 0 tt1 51 r 0
v_accvgpr_read_b32 v7, acc188                      // glvw 12 mb 0 tt1 51 r 0
v_accvgpr_read_b32 v8, acc252                      // glvw 12 mb 0 tt1 51 r 0
s_nop 1                                            // v_accvgpr read vgpr after write vgpr: 2 wait states
ds_bpermute_b32 v5, v0, v5, offset:4               // permute edge values
ds_bpermute_b32 v6, v0, v6, offset:4               // permute edge values
	;; [unrolled: 1-line block ×4, first 2 shown]
s_waitcnt 0                                        // wait for swizzle operation
v_accvgpr_write_b32 acc60, v5                      // 
v_accvgpr_write_b32 acc124, v6                     // 
v_accvgpr_write_b32 acc188, v7                     // 
v_accvgpr_write_b32 acc252, v8                     // 
v_accvgpr_read_b32 v5, acc13                       // glvw 12 mb 0 tt1 52 r 0
v_accvgpr_read_b32 v6, acc77                       // glvw 12 mb 0 tt1 52 r 0
v_accvgpr_read_b32 v7, acc141                      // glvw 12 mb 0 tt1 52 r 0
v_accvgpr_read_b32 v8, acc205                      // glvw 12 mb 0 tt1 52 r 0
s_nop 1                                            // v_accvgpr read vgpr after write vgpr: 2 wait states
ds_bpermute_b32 v5, v0, v5, offset:4               // permute edge values
ds_bpermute_b32 v6, v0, v6, offset:4               // permute edge values
ds_bpermute_b32 v7, v0, v7, offset:4               // permute edge values
ds_bpermute_b32 v8, v0, v8, offset:4               // permute edge values
s_waitcnt 0                                        // wait for swizzle operation
v_accvgpr_write_b32 acc13, v5                      // 
v_accvgpr_write_b32 acc77, v6                      // 
v_accvgpr_write_b32 acc141, v7                     // 
v_accvgpr_write_b32 acc205, v8                     // 
v_accvgpr_read_b32 v5, acc29                       // glvw 12 mb 0 tt1 53 r 0
v_accvgpr_read_b32 v6, acc93                       // glvw 12 mb 0 tt1 53 r 0
v_accvgpr_read_b32 v7, acc157                      // glvw 12 mb 0 tt1 53 r 0
v_accvgpr_read_b32 v8, acc221                      // glvw 12 mb 0 tt1 53 r 0
s_nop 1                                            // v_accvgpr read vgpr after write vgpr: 2 wait states
ds_bpermute_b32 v5, v0, v5, offset:4               // permute edge values
ds_bpermute_b32 v6, v0, v6, offset:4               // permute edge values
	;; [unrolled: 1-line block ×4, first 2 shown]
s_waitcnt 0                                        // wait for swizzle operation
v_accvgpr_write_b32 acc29, v5                      // 
v_accvgpr_write_b32 acc93, v6                      // 
v_accvgpr_write_b32 acc157, v7                     // 
v_accvgpr_write_b32 acc221, v8                     // 
v_accvgpr_read_b32 v5, acc45                       // glvw 12 mb 0 tt1 54 r 0
v_accvgpr_read_b32 v6, acc109                      // glvw 12 mb 0 tt1 54 r 0
v_accvgpr_read_b32 v7, acc173                      // glvw 12 mb 0 tt1 54 r 0
v_accvgpr_read_b32 v8, acc237                      // glvw 12 mb 0 tt1 54 r 0
s_nop 1                                            // v_accvgpr read vgpr after write vgpr: 2 wait states
ds_bpermute_b32 v5, v0, v5, offset:4               // permute edge values
ds_bpermute_b32 v6, v0, v6, offset:4               // permute edge values
	;; [unrolled: 1-line block ×4, first 2 shown]
s_waitcnt 0                                        // wait for swizzle operation
v_accvgpr_write_b32 acc45, v5                      // 
v_accvgpr_write_b32 acc109, v6                     // 
v_accvgpr_write_b32 acc173, v7                     // 
v_accvgpr_write_b32 acc237, v8                     // 
v_accvgpr_read_b32 v5, acc61                       // glvw 12 mb 0 tt1 55 r 0
v_accvgpr_read_b32 v6, acc125                      // glvw 12 mb 0 tt1 55 r 0
v_accvgpr_read_b32 v7, acc189                      // glvw 12 mb 0 tt1 55 r 0
v_accvgpr_read_b32 v8, acc253                      // glvw 12 mb 0 tt1 55 r 0
s_nop 1                                            // v_accvgpr read vgpr after write vgpr: 2 wait states
ds_bpermute_b32 v5, v0, v5, offset:4               // permute edge values
ds_bpermute_b32 v6, v0, v6, offset:4               // permute edge values
	;; [unrolled: 1-line block ×4, first 2 shown]
s_waitcnt 0                                        // wait for swizzle operation
v_accvgpr_write_b32 acc61, v5                      // 
v_accvgpr_write_b32 acc125, v6                     // 
v_accvgpr_write_b32 acc189, v7                     // 
v_accvgpr_write_b32 acc253, v8                     // 
v_accvgpr_read_b32 v5, acc14                       // glvw 12 mb 0 tt1 56 r 0
v_accvgpr_read_b32 v6, acc78                       // glvw 12 mb 0 tt1 56 r 0
v_accvgpr_read_b32 v7, acc142                      // glvw 12 mb 0 tt1 56 r 0
v_accvgpr_read_b32 v8, acc206                      // glvw 12 mb 0 tt1 56 r 0
s_nop 1                                            // v_accvgpr read vgpr after write vgpr: 2 wait states
ds_bpermute_b32 v5, v0, v5, offset:4               // permute edge values
ds_bpermute_b32 v6, v0, v6, offset:4               // permute edge values
ds_bpermute_b32 v7, v0, v7, offset:4               // permute edge values
ds_bpermute_b32 v8, v0, v8, offset:4               // permute edge values
s_waitcnt 0                                        // wait for swizzle operation
v_accvgpr_write_b32 acc14, v5                      // 
v_accvgpr_write_b32 acc78, v6                      // 
v_accvgpr_write_b32 acc142, v7                     // 
v_accvgpr_write_b32 acc206, v8                     // 
v_accvgpr_read_b32 v5, acc30                       // glvw 12 mb 0 tt1 57 r 0
v_accvgpr_read_b32 v6, acc94                       // glvw 12 mb 0 tt1 57 r 0
v_accvgpr_read_b32 v7, acc158                      // glvw 12 mb 0 tt1 57 r 0
v_accvgpr_read_b32 v8, acc222                      // glvw 12 mb 0 tt1 57 r 0
s_nop 1                                            // v_accvgpr read vgpr after write vgpr: 2 wait states
ds_bpermute_b32 v5, v0, v5, offset:4               // permute edge values
ds_bpermute_b32 v6, v0, v6, offset:4               // permute edge values
	;; [unrolled: 1-line block ×4, first 2 shown]
s_waitcnt 0                                        // wait for swizzle operation
v_accvgpr_write_b32 acc30, v5                      // 
v_accvgpr_write_b32 acc94, v6                      // 
v_accvgpr_write_b32 acc158, v7                     // 
v_accvgpr_write_b32 acc222, v8                     // 
v_accvgpr_read_b32 v5, acc46                       // glvw 12 mb 0 tt1 58 r 0
v_accvgpr_read_b32 v6, acc110                      // glvw 12 mb 0 tt1 58 r 0
v_accvgpr_read_b32 v7, acc174                      // glvw 12 mb 0 tt1 58 r 0
v_accvgpr_read_b32 v8, acc238                      // glvw 12 mb 0 tt1 58 r 0
s_nop 1                                            // v_accvgpr read vgpr after write vgpr: 2 wait states
ds_bpermute_b32 v5, v0, v5, offset:4               // permute edge values
ds_bpermute_b32 v6, v0, v6, offset:4               // permute edge values
	;; [unrolled: 1-line block ×4, first 2 shown]
s_waitcnt 0                                        // wait for swizzle operation
v_accvgpr_write_b32 acc46, v5                      // 
v_accvgpr_write_b32 acc110, v6                     // 
v_accvgpr_write_b32 acc174, v7                     // 
v_accvgpr_write_b32 acc238, v8                     // 
v_accvgpr_read_b32 v5, acc62                       // glvw 12 mb 0 tt1 59 r 0
v_accvgpr_read_b32 v6, acc126                      // glvw 12 mb 0 tt1 59 r 0
v_accvgpr_read_b32 v7, acc190                      // glvw 12 mb 0 tt1 59 r 0
v_accvgpr_read_b32 v8, acc254                      // glvw 12 mb 0 tt1 59 r 0
s_nop 1                                            // v_accvgpr read vgpr after write vgpr: 2 wait states
ds_bpermute_b32 v5, v0, v5, offset:4               // permute edge values
ds_bpermute_b32 v6, v0, v6, offset:4               // permute edge values
	;; [unrolled: 1-line block ×4, first 2 shown]
s_waitcnt 0                                        // wait for swizzle operation
v_accvgpr_write_b32 acc62, v5                      // 
v_accvgpr_write_b32 acc126, v6                     // 
v_accvgpr_write_b32 acc190, v7                     // 
v_accvgpr_write_b32 acc254, v8                     // 
v_accvgpr_read_b32 v5, acc15                       // glvw 12 mb 0 tt1 60 r 0
v_accvgpr_read_b32 v6, acc79                       // glvw 12 mb 0 tt1 60 r 0
v_accvgpr_read_b32 v7, acc143                      // glvw 12 mb 0 tt1 60 r 0
v_accvgpr_read_b32 v8, acc207                      // glvw 12 mb 0 tt1 60 r 0
s_nop 1                                            // v_accvgpr read vgpr after write vgpr: 2 wait states
ds_bpermute_b32 v5, v0, v5, offset:4               // permute edge values
ds_bpermute_b32 v6, v0, v6, offset:4               // permute edge values
	;; [unrolled: 1-line block ×4, first 2 shown]
s_waitcnt 0                                        // wait for swizzle operation
v_accvgpr_write_b32 acc15, v5                      // 
v_accvgpr_write_b32 acc79, v6                      // 
v_accvgpr_write_b32 acc143, v7                     // 
v_accvgpr_write_b32 acc207, v8                     // 
v_accvgpr_read_b32 v5, acc31                       // glvw 12 mb 0 tt1 61 r 0
v_accvgpr_read_b32 v6, acc95                       // glvw 12 mb 0 tt1 61 r 0
v_accvgpr_read_b32 v7, acc159                      // glvw 12 mb 0 tt1 61 r 0
v_accvgpr_read_b32 v8, acc223                      // glvw 12 mb 0 tt1 61 r 0
s_nop 1                                            // v_accvgpr read vgpr after write vgpr: 2 wait states
ds_bpermute_b32 v5, v0, v5, offset:4               // permute edge values
ds_bpermute_b32 v6, v0, v6, offset:4               // permute edge values
	;; [unrolled: 1-line block ×4, first 2 shown]
s_waitcnt 0                                        // wait for swizzle operation
v_accvgpr_write_b32 acc31, v5                      // 
v_accvgpr_write_b32 acc95, v6                      // 
v_accvgpr_write_b32 acc159, v7                     // 
v_accvgpr_write_b32 acc223, v8                     // 
v_accvgpr_read_b32 v5, acc47                       // glvw 12 mb 0 tt1 62 r 0
v_accvgpr_read_b32 v6, acc111                      // glvw 12 mb 0 tt1 62 r 0
v_accvgpr_read_b32 v7, acc175                      // glvw 12 mb 0 tt1 62 r 0
v_accvgpr_read_b32 v8, acc239                      // glvw 12 mb 0 tt1 62 r 0
s_nop 1                                            // v_accvgpr read vgpr after write vgpr: 2 wait states
ds_bpermute_b32 v5, v0, v5, offset:4               // permute edge values
ds_bpermute_b32 v6, v0, v6, offset:4               // permute edge values
	;; [unrolled: 1-line block ×4, first 2 shown]
s_waitcnt 0                                        // wait for swizzle operation
v_accvgpr_write_b32 acc47, v5                      // 
v_accvgpr_write_b32 acc111, v6                     // 
v_accvgpr_write_b32 acc175, v7                     // 
v_accvgpr_write_b32 acc239, v8                     // 
v_accvgpr_read_b32 v5, acc63                       // glvw 12 mb 0 tt1 63 r 0
v_accvgpr_read_b32 v6, acc127                      // glvw 12 mb 0 tt1 63 r 0
v_accvgpr_read_b32 v7, acc191                      // glvw 12 mb 0 tt1 63 r 0
v_accvgpr_read_b32 v8, acc255                      // glvw 12 mb 0 tt1 63 r 0
s_nop 1                                            // v_accvgpr read vgpr after write vgpr: 2 wait states
ds_bpermute_b32 v5, v0, v5, offset:4               // permute edge values
ds_bpermute_b32 v6, v0, v6, offset:4               // permute edge values
	;; [unrolled: 1-line block ×4, first 2 shown]
s_waitcnt 0                                        // wait for swizzle operation
v_accvgpr_write_b32 acc63, v5                      // 
v_accvgpr_write_b32 acc127, v6                     // 
v_accvgpr_write_b32 acc191, v7                     // 
v_accvgpr_write_b32 acc255, v8                     // 
s_mov_b64 s[42:43], 0xFFFFFFFFFFFFFFFF             // to restore all threads active
s_or_saveexec_b64 vcc, s[42:43]                    // all threads active
s_branch label_0222                                // done shifting


/******************************************/
/* shift d1 r=13 mb=0 vw0                 */
/******************************************/
label_0215: // r13 mb0 vw0 
s_mov_b32 s42, 0                                   // 
_v_cmpx_eq_u32 s[42:43], v4, s42                   // is thread in edge glvw region
v_and_b32 v0, 63, v[vgprSerial]                    // permute register between threads
v_lshlrev_b32 v0, 2, v0                            // permute register between threads
v_accvgpr_read_b32 v5, acc192                      // glvw 13 mb 0 tt1 0 r 0
v_accvgpr_read_b32 v6, acc0                        // glvw 13 mb 0 tt1 0 r 0
v_accvgpr_read_b32 v7, acc64                       // glvw 13 mb 0 tt1 0 r 0
v_accvgpr_read_b32 v8, acc128                      // glvw 13 mb 0 tt1 0 r 0
s_nop 1                                            // v_accvgpr read vgpr after write vgpr: 2 wait states
ds_bpermute_b32 v6, v0, v6, offset:4               // permute edge values
ds_bpermute_b32 v7, v0, v7, offset:4               // permute edge values
	;; [unrolled: 1-line block ×3, first 2 shown]
s_waitcnt 0                                        // wait for swizzle operation
v_accvgpr_write_b32 acc0, v5                       // 
v_accvgpr_write_b32 acc64, v6                      // 
v_accvgpr_write_b32 acc128, v7                     // 
v_accvgpr_write_b32 acc192, v8                     // 
v_accvgpr_read_b32 v5, acc208                      // glvw 13 mb 0 tt1 1 r 0
v_accvgpr_read_b32 v6, acc16                       // glvw 13 mb 0 tt1 1 r 0
v_accvgpr_read_b32 v7, acc80                       // glvw 13 mb 0 tt1 1 r 0
v_accvgpr_read_b32 v8, acc144                      // glvw 13 mb 0 tt1 1 r 0
s_nop 1                                            // v_accvgpr read vgpr after write vgpr: 2 wait states
ds_bpermute_b32 v6, v0, v6, offset:4               // permute edge values
ds_bpermute_b32 v7, v0, v7, offset:4               // permute edge values
	;; [unrolled: 1-line block ×3, first 2 shown]
s_waitcnt 0                                        // wait for swizzle operation
v_accvgpr_write_b32 acc16, v5                      // 
v_accvgpr_write_b32 acc80, v6                      // 
v_accvgpr_write_b32 acc144, v7                     // 
v_accvgpr_write_b32 acc208, v8                     // 
v_accvgpr_read_b32 v5, acc224                      // glvw 13 mb 0 tt1 2 r 0
v_accvgpr_read_b32 v6, acc32                       // glvw 13 mb 0 tt1 2 r 0
v_accvgpr_read_b32 v7, acc96                       // glvw 13 mb 0 tt1 2 r 0
v_accvgpr_read_b32 v8, acc160                      // glvw 13 mb 0 tt1 2 r 0
s_nop 1                                            // v_accvgpr read vgpr after write vgpr: 2 wait states
ds_bpermute_b32 v6, v0, v6, offset:4               // permute edge values
ds_bpermute_b32 v7, v0, v7, offset:4               // permute edge values
	;; [unrolled: 1-line block ×3, first 2 shown]
s_waitcnt 0                                        // wait for swizzle operation
v_accvgpr_write_b32 acc32, v5                      // 
v_accvgpr_write_b32 acc96, v6                      // 
v_accvgpr_write_b32 acc160, v7                     // 
v_accvgpr_write_b32 acc224, v8                     // 
v_accvgpr_read_b32 v5, acc240                      // glvw 13 mb 0 tt1 3 r 0
v_accvgpr_read_b32 v6, acc48                       // glvw 13 mb 0 tt1 3 r 0
v_accvgpr_read_b32 v7, acc112                      // glvw 13 mb 0 tt1 3 r 0
v_accvgpr_read_b32 v8, acc176                      // glvw 13 mb 0 tt1 3 r 0
s_nop 1                                            // v_accvgpr read vgpr after write vgpr: 2 wait states
ds_bpermute_b32 v6, v0, v6, offset:4               // permute edge values
ds_bpermute_b32 v7, v0, v7, offset:4               // permute edge values
	;; [unrolled: 1-line block ×3, first 2 shown]
s_waitcnt 0                                        // wait for swizzle operation
v_accvgpr_write_b32 acc48, v5                      // 
v_accvgpr_write_b32 acc112, v6                     // 
v_accvgpr_write_b32 acc176, v7                     // 
v_accvgpr_write_b32 acc240, v8                     // 
v_accvgpr_read_b32 v5, acc193                      // glvw 13 mb 0 tt1 4 r 0
v_accvgpr_read_b32 v6, acc1                        // glvw 13 mb 0 tt1 4 r 0
v_accvgpr_read_b32 v7, acc65                       // glvw 13 mb 0 tt1 4 r 0
v_accvgpr_read_b32 v8, acc129                      // glvw 13 mb 0 tt1 4 r 0
s_nop 1                                            // v_accvgpr read vgpr after write vgpr: 2 wait states
ds_bpermute_b32 v6, v0, v6, offset:4               // permute edge values
ds_bpermute_b32 v7, v0, v7, offset:4               // permute edge values
	;; [unrolled: 1-line block ×3, first 2 shown]
s_waitcnt 0                                        // wait for swizzle operation
v_accvgpr_write_b32 acc1, v5                       // 
v_accvgpr_write_b32 acc65, v6                      // 
v_accvgpr_write_b32 acc129, v7                     // 
v_accvgpr_write_b32 acc193, v8                     // 
v_accvgpr_read_b32 v5, acc209                      // glvw 13 mb 0 tt1 5 r 0
v_accvgpr_read_b32 v6, acc17                       // glvw 13 mb 0 tt1 5 r 0
v_accvgpr_read_b32 v7, acc81                       // glvw 13 mb 0 tt1 5 r 0
v_accvgpr_read_b32 v8, acc145                      // glvw 13 mb 0 tt1 5 r 0
s_nop 1                                            // v_accvgpr read vgpr after write vgpr: 2 wait states
ds_bpermute_b32 v6, v0, v6, offset:4               // permute edge values
ds_bpermute_b32 v7, v0, v7, offset:4               // permute edge values
	;; [unrolled: 1-line block ×3, first 2 shown]
s_waitcnt 0                                        // wait for swizzle operation
v_accvgpr_write_b32 acc17, v5                      // 
v_accvgpr_write_b32 acc81, v6                      // 
v_accvgpr_write_b32 acc145, v7                     // 
v_accvgpr_write_b32 acc209, v8                     // 
v_accvgpr_read_b32 v5, acc225                      // glvw 13 mb 0 tt1 6 r 0
v_accvgpr_read_b32 v6, acc33                       // glvw 13 mb 0 tt1 6 r 0
v_accvgpr_read_b32 v7, acc97                       // glvw 13 mb 0 tt1 6 r 0
v_accvgpr_read_b32 v8, acc161                      // glvw 13 mb 0 tt1 6 r 0
s_nop 1                                            // v_accvgpr read vgpr after write vgpr: 2 wait states
ds_bpermute_b32 v6, v0, v6, offset:4               // permute edge values
ds_bpermute_b32 v7, v0, v7, offset:4               // permute edge values
	;; [unrolled: 1-line block ×3, first 2 shown]
s_waitcnt 0                                        // wait for swizzle operation
v_accvgpr_write_b32 acc33, v5                      // 
v_accvgpr_write_b32 acc97, v6                      // 
v_accvgpr_write_b32 acc161, v7                     // 
v_accvgpr_write_b32 acc225, v8                     // 
v_accvgpr_read_b32 v5, acc241                      // glvw 13 mb 0 tt1 7 r 0
v_accvgpr_read_b32 v6, acc49                       // glvw 13 mb 0 tt1 7 r 0
v_accvgpr_read_b32 v7, acc113                      // glvw 13 mb 0 tt1 7 r 0
v_accvgpr_read_b32 v8, acc177                      // glvw 13 mb 0 tt1 7 r 0
s_nop 1                                            // v_accvgpr read vgpr after write vgpr: 2 wait states
ds_bpermute_b32 v6, v0, v6, offset:4               // permute edge values
ds_bpermute_b32 v7, v0, v7, offset:4               // permute edge values
ds_bpermute_b32 v8, v0, v8, offset:4               // permute edge values
s_waitcnt 0                                        // wait for swizzle operation
v_accvgpr_write_b32 acc49, v5                      // 
v_accvgpr_write_b32 acc113, v6                     // 
v_accvgpr_write_b32 acc177, v7                     // 
v_accvgpr_write_b32 acc241, v8                     // 
v_accvgpr_read_b32 v5, acc194                      // glvw 13 mb 0 tt1 8 r 0
v_accvgpr_read_b32 v6, acc2                        // glvw 13 mb 0 tt1 8 r 0
v_accvgpr_read_b32 v7, acc66                       // glvw 13 mb 0 tt1 8 r 0
v_accvgpr_read_b32 v8, acc130                      // glvw 13 mb 0 tt1 8 r 0
s_nop 1                                            // v_accvgpr read vgpr after write vgpr: 2 wait states
ds_bpermute_b32 v6, v0, v6, offset:4               // permute edge values
ds_bpermute_b32 v7, v0, v7, offset:4               // permute edge values
	;; [unrolled: 1-line block ×3, first 2 shown]
s_waitcnt 0                                        // wait for swizzle operation
v_accvgpr_write_b32 acc2, v5                       // 
v_accvgpr_write_b32 acc66, v6                      // 
v_accvgpr_write_b32 acc130, v7                     // 
v_accvgpr_write_b32 acc194, v8                     // 
v_accvgpr_read_b32 v5, acc210                      // glvw 13 mb 0 tt1 9 r 0
v_accvgpr_read_b32 v6, acc18                       // glvw 13 mb 0 tt1 9 r 0
v_accvgpr_read_b32 v7, acc82                       // glvw 13 mb 0 tt1 9 r 0
v_accvgpr_read_b32 v8, acc146                      // glvw 13 mb 0 tt1 9 r 0
s_nop 1                                            // v_accvgpr read vgpr after write vgpr: 2 wait states
ds_bpermute_b32 v6, v0, v6, offset:4               // permute edge values
ds_bpermute_b32 v7, v0, v7, offset:4               // permute edge values
	;; [unrolled: 1-line block ×3, first 2 shown]
s_waitcnt 0                                        // wait for swizzle operation
v_accvgpr_write_b32 acc18, v5                      // 
v_accvgpr_write_b32 acc82, v6                      // 
v_accvgpr_write_b32 acc146, v7                     // 
v_accvgpr_write_b32 acc210, v8                     // 
v_accvgpr_read_b32 v5, acc226                      // glvw 13 mb 0 tt1 10 r 0
v_accvgpr_read_b32 v6, acc34                       // glvw 13 mb 0 tt1 10 r 0
v_accvgpr_read_b32 v7, acc98                       // glvw 13 mb 0 tt1 10 r 0
v_accvgpr_read_b32 v8, acc162                      // glvw 13 mb 0 tt1 10 r 0
s_nop 1                                            // v_accvgpr read vgpr after write vgpr: 2 wait states
ds_bpermute_b32 v6, v0, v6, offset:4               // permute edge values
ds_bpermute_b32 v7, v0, v7, offset:4               // permute edge values
	;; [unrolled: 1-line block ×3, first 2 shown]
s_waitcnt 0                                        // wait for swizzle operation
v_accvgpr_write_b32 acc34, v5                      // 
v_accvgpr_write_b32 acc98, v6                      // 
v_accvgpr_write_b32 acc162, v7                     // 
v_accvgpr_write_b32 acc226, v8                     // 
v_accvgpr_read_b32 v5, acc242                      // glvw 13 mb 0 tt1 11 r 0
v_accvgpr_read_b32 v6, acc50                       // glvw 13 mb 0 tt1 11 r 0
v_accvgpr_read_b32 v7, acc114                      // glvw 13 mb 0 tt1 11 r 0
v_accvgpr_read_b32 v8, acc178                      // glvw 13 mb 0 tt1 11 r 0
s_nop 1                                            // v_accvgpr read vgpr after write vgpr: 2 wait states
ds_bpermute_b32 v6, v0, v6, offset:4               // permute edge values
ds_bpermute_b32 v7, v0, v7, offset:4               // permute edge values
	;; [unrolled: 1-line block ×3, first 2 shown]
s_waitcnt 0                                        // wait for swizzle operation
v_accvgpr_write_b32 acc50, v5                      // 
v_accvgpr_write_b32 acc114, v6                     // 
v_accvgpr_write_b32 acc178, v7                     // 
v_accvgpr_write_b32 acc242, v8                     // 
v_accvgpr_read_b32 v5, acc195                      // glvw 13 mb 0 tt1 12 r 0
v_accvgpr_read_b32 v6, acc3                        // glvw 13 mb 0 tt1 12 r 0
v_accvgpr_read_b32 v7, acc67                       // glvw 13 mb 0 tt1 12 r 0
v_accvgpr_read_b32 v8, acc131                      // glvw 13 mb 0 tt1 12 r 0
s_nop 1                                            // v_accvgpr read vgpr after write vgpr: 2 wait states
ds_bpermute_b32 v6, v0, v6, offset:4               // permute edge values
ds_bpermute_b32 v7, v0, v7, offset:4               // permute edge values
	;; [unrolled: 1-line block ×3, first 2 shown]
s_waitcnt 0                                        // wait for swizzle operation
v_accvgpr_write_b32 acc3, v5                       // 
v_accvgpr_write_b32 acc67, v6                      // 
v_accvgpr_write_b32 acc131, v7                     // 
v_accvgpr_write_b32 acc195, v8                     // 
v_accvgpr_read_b32 v5, acc211                      // glvw 13 mb 0 tt1 13 r 0
v_accvgpr_read_b32 v6, acc19                       // glvw 13 mb 0 tt1 13 r 0
v_accvgpr_read_b32 v7, acc83                       // glvw 13 mb 0 tt1 13 r 0
v_accvgpr_read_b32 v8, acc147                      // glvw 13 mb 0 tt1 13 r 0
s_nop 1                                            // v_accvgpr read vgpr after write vgpr: 2 wait states
ds_bpermute_b32 v6, v0, v6, offset:4               // permute edge values
ds_bpermute_b32 v7, v0, v7, offset:4               // permute edge values
	;; [unrolled: 1-line block ×3, first 2 shown]
s_waitcnt 0                                        // wait for swizzle operation
v_accvgpr_write_b32 acc19, v5                      // 
v_accvgpr_write_b32 acc83, v6                      // 
v_accvgpr_write_b32 acc147, v7                     // 
v_accvgpr_write_b32 acc211, v8                     // 
v_accvgpr_read_b32 v5, acc227                      // glvw 13 mb 0 tt1 14 r 0
v_accvgpr_read_b32 v6, acc35                       // glvw 13 mb 0 tt1 14 r 0
v_accvgpr_read_b32 v7, acc99                       // glvw 13 mb 0 tt1 14 r 0
v_accvgpr_read_b32 v8, acc163                      // glvw 13 mb 0 tt1 14 r 0
s_nop 1                                            // v_accvgpr read vgpr after write vgpr: 2 wait states
ds_bpermute_b32 v6, v0, v6, offset:4               // permute edge values
ds_bpermute_b32 v7, v0, v7, offset:4               // permute edge values
	;; [unrolled: 1-line block ×3, first 2 shown]
s_waitcnt 0                                        // wait for swizzle operation
v_accvgpr_write_b32 acc35, v5                      // 
v_accvgpr_write_b32 acc99, v6                      // 
v_accvgpr_write_b32 acc163, v7                     // 
v_accvgpr_write_b32 acc227, v8                     // 
v_accvgpr_read_b32 v5, acc243                      // glvw 13 mb 0 tt1 15 r 0
v_accvgpr_read_b32 v6, acc51                       // glvw 13 mb 0 tt1 15 r 0
v_accvgpr_read_b32 v7, acc115                      // glvw 13 mb 0 tt1 15 r 0
v_accvgpr_read_b32 v8, acc179                      // glvw 13 mb 0 tt1 15 r 0
s_nop 1                                            // v_accvgpr read vgpr after write vgpr: 2 wait states
ds_bpermute_b32 v6, v0, v6, offset:4               // permute edge values
ds_bpermute_b32 v7, v0, v7, offset:4               // permute edge values
	;; [unrolled: 1-line block ×3, first 2 shown]
s_waitcnt 0                                        // wait for swizzle operation
v_accvgpr_write_b32 acc51, v5                      // 
v_accvgpr_write_b32 acc115, v6                     // 
v_accvgpr_write_b32 acc179, v7                     // 
v_accvgpr_write_b32 acc243, v8                     // 
v_accvgpr_read_b32 v5, acc196                      // glvw 13 mb 0 tt1 16 r 0
v_accvgpr_read_b32 v6, acc4                        // glvw 13 mb 0 tt1 16 r 0
v_accvgpr_read_b32 v7, acc68                       // glvw 13 mb 0 tt1 16 r 0
v_accvgpr_read_b32 v8, acc132                      // glvw 13 mb 0 tt1 16 r 0
s_nop 1                                            // v_accvgpr read vgpr after write vgpr: 2 wait states
ds_bpermute_b32 v6, v0, v6, offset:4               // permute edge values
ds_bpermute_b32 v7, v0, v7, offset:4               // permute edge values
	;; [unrolled: 1-line block ×3, first 2 shown]
s_waitcnt 0                                        // wait for swizzle operation
v_accvgpr_write_b32 acc4, v5                       // 
v_accvgpr_write_b32 acc68, v6                      // 
v_accvgpr_write_b32 acc132, v7                     // 
v_accvgpr_write_b32 acc196, v8                     // 
v_accvgpr_read_b32 v5, acc212                      // glvw 13 mb 0 tt1 17 r 0
v_accvgpr_read_b32 v6, acc20                       // glvw 13 mb 0 tt1 17 r 0
v_accvgpr_read_b32 v7, acc84                       // glvw 13 mb 0 tt1 17 r 0
v_accvgpr_read_b32 v8, acc148                      // glvw 13 mb 0 tt1 17 r 0
s_nop 1                                            // v_accvgpr read vgpr after write vgpr: 2 wait states
ds_bpermute_b32 v6, v0, v6, offset:4               // permute edge values
ds_bpermute_b32 v7, v0, v7, offset:4               // permute edge values
	;; [unrolled: 1-line block ×3, first 2 shown]
s_waitcnt 0                                        // wait for swizzle operation
v_accvgpr_write_b32 acc20, v5                      // 
v_accvgpr_write_b32 acc84, v6                      // 
v_accvgpr_write_b32 acc148, v7                     // 
v_accvgpr_write_b32 acc212, v8                     // 
v_accvgpr_read_b32 v5, acc228                      // glvw 13 mb 0 tt1 18 r 0
v_accvgpr_read_b32 v6, acc36                       // glvw 13 mb 0 tt1 18 r 0
v_accvgpr_read_b32 v7, acc100                      // glvw 13 mb 0 tt1 18 r 0
v_accvgpr_read_b32 v8, acc164                      // glvw 13 mb 0 tt1 18 r 0
s_nop 1                                            // v_accvgpr read vgpr after write vgpr: 2 wait states
ds_bpermute_b32 v6, v0, v6, offset:4               // permute edge values
ds_bpermute_b32 v7, v0, v7, offset:4               // permute edge values
	;; [unrolled: 1-line block ×3, first 2 shown]
s_waitcnt 0                                        // wait for swizzle operation
v_accvgpr_write_b32 acc36, v5                      // 
v_accvgpr_write_b32 acc100, v6                     // 
v_accvgpr_write_b32 acc164, v7                     // 
v_accvgpr_write_b32 acc228, v8                     // 
v_accvgpr_read_b32 v5, acc244                      // glvw 13 mb 0 tt1 19 r 0
v_accvgpr_read_b32 v6, acc52                       // glvw 13 mb 0 tt1 19 r 0
v_accvgpr_read_b32 v7, acc116                      // glvw 13 mb 0 tt1 19 r 0
v_accvgpr_read_b32 v8, acc180                      // glvw 13 mb 0 tt1 19 r 0
s_nop 1                                            // v_accvgpr read vgpr after write vgpr: 2 wait states
ds_bpermute_b32 v6, v0, v6, offset:4               // permute edge values
ds_bpermute_b32 v7, v0, v7, offset:4               // permute edge values
	;; [unrolled: 1-line block ×3, first 2 shown]
s_waitcnt 0                                        // wait for swizzle operation
v_accvgpr_write_b32 acc52, v5                      // 
v_accvgpr_write_b32 acc116, v6                     // 
v_accvgpr_write_b32 acc180, v7                     // 
v_accvgpr_write_b32 acc244, v8                     // 
v_accvgpr_read_b32 v5, acc197                      // glvw 13 mb 0 tt1 20 r 0
v_accvgpr_read_b32 v6, acc5                        // glvw 13 mb 0 tt1 20 r 0
v_accvgpr_read_b32 v7, acc69                       // glvw 13 mb 0 tt1 20 r 0
v_accvgpr_read_b32 v8, acc133                      // glvw 13 mb 0 tt1 20 r 0
s_nop 1                                            // v_accvgpr read vgpr after write vgpr: 2 wait states
ds_bpermute_b32 v6, v0, v6, offset:4               // permute edge values
ds_bpermute_b32 v7, v0, v7, offset:4               // permute edge values
	;; [unrolled: 1-line block ×3, first 2 shown]
s_waitcnt 0                                        // wait for swizzle operation
v_accvgpr_write_b32 acc5, v5                       // 
v_accvgpr_write_b32 acc69, v6                      // 
v_accvgpr_write_b32 acc133, v7                     // 
v_accvgpr_write_b32 acc197, v8                     // 
v_accvgpr_read_b32 v5, acc213                      // glvw 13 mb 0 tt1 21 r 0
v_accvgpr_read_b32 v6, acc21                       // glvw 13 mb 0 tt1 21 r 0
v_accvgpr_read_b32 v7, acc85                       // glvw 13 mb 0 tt1 21 r 0
v_accvgpr_read_b32 v8, acc149                      // glvw 13 mb 0 tt1 21 r 0
s_nop 1                                            // v_accvgpr read vgpr after write vgpr: 2 wait states
ds_bpermute_b32 v6, v0, v6, offset:4               // permute edge values
ds_bpermute_b32 v7, v0, v7, offset:4               // permute edge values
	;; [unrolled: 1-line block ×3, first 2 shown]
s_waitcnt 0                                        // wait for swizzle operation
v_accvgpr_write_b32 acc21, v5                      // 
v_accvgpr_write_b32 acc85, v6                      // 
v_accvgpr_write_b32 acc149, v7                     // 
v_accvgpr_write_b32 acc213, v8                     // 
v_accvgpr_read_b32 v5, acc229                      // glvw 13 mb 0 tt1 22 r 0
v_accvgpr_read_b32 v6, acc37                       // glvw 13 mb 0 tt1 22 r 0
v_accvgpr_read_b32 v7, acc101                      // glvw 13 mb 0 tt1 22 r 0
v_accvgpr_read_b32 v8, acc165                      // glvw 13 mb 0 tt1 22 r 0
s_nop 1                                            // v_accvgpr read vgpr after write vgpr: 2 wait states
ds_bpermute_b32 v6, v0, v6, offset:4               // permute edge values
ds_bpermute_b32 v7, v0, v7, offset:4               // permute edge values
	;; [unrolled: 1-line block ×3, first 2 shown]
s_waitcnt 0                                        // wait for swizzle operation
v_accvgpr_write_b32 acc37, v5                      // 
v_accvgpr_write_b32 acc101, v6                     // 
v_accvgpr_write_b32 acc165, v7                     // 
v_accvgpr_write_b32 acc229, v8                     // 
v_accvgpr_read_b32 v5, acc245                      // glvw 13 mb 0 tt1 23 r 0
v_accvgpr_read_b32 v6, acc53                       // glvw 13 mb 0 tt1 23 r 0
v_accvgpr_read_b32 v7, acc117                      // glvw 13 mb 0 tt1 23 r 0
v_accvgpr_read_b32 v8, acc181                      // glvw 13 mb 0 tt1 23 r 0
s_nop 1                                            // v_accvgpr read vgpr after write vgpr: 2 wait states
ds_bpermute_b32 v6, v0, v6, offset:4               // permute edge values
ds_bpermute_b32 v7, v0, v7, offset:4               // permute edge values
	;; [unrolled: 1-line block ×3, first 2 shown]
s_waitcnt 0                                        // wait for swizzle operation
v_accvgpr_write_b32 acc53, v5                      // 
v_accvgpr_write_b32 acc117, v6                     // 
v_accvgpr_write_b32 acc181, v7                     // 
v_accvgpr_write_b32 acc245, v8                     // 
v_accvgpr_read_b32 v5, acc198                      // glvw 13 mb 0 tt1 24 r 0
v_accvgpr_read_b32 v6, acc6                        // glvw 13 mb 0 tt1 24 r 0
v_accvgpr_read_b32 v7, acc70                       // glvw 13 mb 0 tt1 24 r 0
v_accvgpr_read_b32 v8, acc134                      // glvw 13 mb 0 tt1 24 r 0
s_nop 1                                            // v_accvgpr read vgpr after write vgpr: 2 wait states
ds_bpermute_b32 v6, v0, v6, offset:4               // permute edge values
ds_bpermute_b32 v7, v0, v7, offset:4               // permute edge values
	;; [unrolled: 1-line block ×3, first 2 shown]
s_waitcnt 0                                        // wait for swizzle operation
v_accvgpr_write_b32 acc6, v5                       // 
v_accvgpr_write_b32 acc70, v6                      // 
v_accvgpr_write_b32 acc134, v7                     // 
v_accvgpr_write_b32 acc198, v8                     // 
v_accvgpr_read_b32 v5, acc214                      // glvw 13 mb 0 tt1 25 r 0
v_accvgpr_read_b32 v6, acc22                       // glvw 13 mb 0 tt1 25 r 0
v_accvgpr_read_b32 v7, acc86                       // glvw 13 mb 0 tt1 25 r 0
v_accvgpr_read_b32 v8, acc150                      // glvw 13 mb 0 tt1 25 r 0
s_nop 1                                            // v_accvgpr read vgpr after write vgpr: 2 wait states
ds_bpermute_b32 v6, v0, v6, offset:4               // permute edge values
ds_bpermute_b32 v7, v0, v7, offset:4               // permute edge values
ds_bpermute_b32 v8, v0, v8, offset:4               // permute edge values
s_waitcnt 0                                        // wait for swizzle operation
v_accvgpr_write_b32 acc22, v5                      // 
v_accvgpr_write_b32 acc86, v6                      // 
v_accvgpr_write_b32 acc150, v7                     // 
v_accvgpr_write_b32 acc214, v8                     // 
v_accvgpr_read_b32 v5, acc230                      // glvw 13 mb 0 tt1 26 r 0
v_accvgpr_read_b32 v6, acc38                       // glvw 13 mb 0 tt1 26 r 0
v_accvgpr_read_b32 v7, acc102                      // glvw 13 mb 0 tt1 26 r 0
v_accvgpr_read_b32 v8, acc166                      // glvw 13 mb 0 tt1 26 r 0
s_nop 1                                            // v_accvgpr read vgpr after write vgpr: 2 wait states
ds_bpermute_b32 v6, v0, v6, offset:4               // permute edge values
ds_bpermute_b32 v7, v0, v7, offset:4               // permute edge values
	;; [unrolled: 1-line block ×3, first 2 shown]
s_waitcnt 0                                        // wait for swizzle operation
v_accvgpr_write_b32 acc38, v5                      // 
v_accvgpr_write_b32 acc102, v6                     // 
v_accvgpr_write_b32 acc166, v7                     // 
v_accvgpr_write_b32 acc230, v8                     // 
v_accvgpr_read_b32 v5, acc246                      // glvw 13 mb 0 tt1 27 r 0
v_accvgpr_read_b32 v6, acc54                       // glvw 13 mb 0 tt1 27 r 0
v_accvgpr_read_b32 v7, acc118                      // glvw 13 mb 0 tt1 27 r 0
v_accvgpr_read_b32 v8, acc182                      // glvw 13 mb 0 tt1 27 r 0
s_nop 1                                            // v_accvgpr read vgpr after write vgpr: 2 wait states
ds_bpermute_b32 v6, v0, v6, offset:4               // permute edge values
ds_bpermute_b32 v7, v0, v7, offset:4               // permute edge values
	;; [unrolled: 1-line block ×3, first 2 shown]
s_waitcnt 0                                        // wait for swizzle operation
v_accvgpr_write_b32 acc54, v5                      // 
v_accvgpr_write_b32 acc118, v6                     // 
v_accvgpr_write_b32 acc182, v7                     // 
v_accvgpr_write_b32 acc246, v8                     // 
v_accvgpr_read_b32 v5, acc199                      // glvw 13 mb 0 tt1 28 r 0
v_accvgpr_read_b32 v6, acc7                        // glvw 13 mb 0 tt1 28 r 0
v_accvgpr_read_b32 v7, acc71                       // glvw 13 mb 0 tt1 28 r 0
v_accvgpr_read_b32 v8, acc135                      // glvw 13 mb 0 tt1 28 r 0
s_nop 1                                            // v_accvgpr read vgpr after write vgpr: 2 wait states
ds_bpermute_b32 v6, v0, v6, offset:4               // permute edge values
ds_bpermute_b32 v7, v0, v7, offset:4               // permute edge values
	;; [unrolled: 1-line block ×3, first 2 shown]
s_waitcnt 0                                        // wait for swizzle operation
v_accvgpr_write_b32 acc7, v5                       // 
v_accvgpr_write_b32 acc71, v6                      // 
v_accvgpr_write_b32 acc135, v7                     // 
v_accvgpr_write_b32 acc199, v8                     // 
v_accvgpr_read_b32 v5, acc215                      // glvw 13 mb 0 tt1 29 r 0
v_accvgpr_read_b32 v6, acc23                       // glvw 13 mb 0 tt1 29 r 0
v_accvgpr_read_b32 v7, acc87                       // glvw 13 mb 0 tt1 29 r 0
v_accvgpr_read_b32 v8, acc151                      // glvw 13 mb 0 tt1 29 r 0
s_nop 1                                            // v_accvgpr read vgpr after write vgpr: 2 wait states
ds_bpermute_b32 v6, v0, v6, offset:4               // permute edge values
ds_bpermute_b32 v7, v0, v7, offset:4               // permute edge values
	;; [unrolled: 1-line block ×3, first 2 shown]
s_waitcnt 0                                        // wait for swizzle operation
v_accvgpr_write_b32 acc23, v5                      // 
v_accvgpr_write_b32 acc87, v6                      // 
v_accvgpr_write_b32 acc151, v7                     // 
v_accvgpr_write_b32 acc215, v8                     // 
v_accvgpr_read_b32 v5, acc231                      // glvw 13 mb 0 tt1 30 r 0
v_accvgpr_read_b32 v6, acc39                       // glvw 13 mb 0 tt1 30 r 0
v_accvgpr_read_b32 v7, acc103                      // glvw 13 mb 0 tt1 30 r 0
v_accvgpr_read_b32 v8, acc167                      // glvw 13 mb 0 tt1 30 r 0
s_nop 1                                            // v_accvgpr read vgpr after write vgpr: 2 wait states
ds_bpermute_b32 v6, v0, v6, offset:4               // permute edge values
ds_bpermute_b32 v7, v0, v7, offset:4               // permute edge values
	;; [unrolled: 1-line block ×3, first 2 shown]
s_waitcnt 0                                        // wait for swizzle operation
v_accvgpr_write_b32 acc39, v5                      // 
v_accvgpr_write_b32 acc103, v6                     // 
v_accvgpr_write_b32 acc167, v7                     // 
v_accvgpr_write_b32 acc231, v8                     // 
v_accvgpr_read_b32 v5, acc247                      // glvw 13 mb 0 tt1 31 r 0
v_accvgpr_read_b32 v6, acc55                       // glvw 13 mb 0 tt1 31 r 0
v_accvgpr_read_b32 v7, acc119                      // glvw 13 mb 0 tt1 31 r 0
v_accvgpr_read_b32 v8, acc183                      // glvw 13 mb 0 tt1 31 r 0
s_nop 1                                            // v_accvgpr read vgpr after write vgpr: 2 wait states
ds_bpermute_b32 v6, v0, v6, offset:4               // permute edge values
ds_bpermute_b32 v7, v0, v7, offset:4               // permute edge values
	;; [unrolled: 1-line block ×3, first 2 shown]
s_waitcnt 0                                        // wait for swizzle operation
v_accvgpr_write_b32 acc55, v5                      // 
v_accvgpr_write_b32 acc119, v6                     // 
v_accvgpr_write_b32 acc183, v7                     // 
v_accvgpr_write_b32 acc247, v8                     // 
v_accvgpr_read_b32 v5, acc200                      // glvw 13 mb 0 tt1 32 r 0
v_accvgpr_read_b32 v6, acc8                        // glvw 13 mb 0 tt1 32 r 0
v_accvgpr_read_b32 v7, acc72                       // glvw 13 mb 0 tt1 32 r 0
v_accvgpr_read_b32 v8, acc136                      // glvw 13 mb 0 tt1 32 r 0
s_nop 1                                            // v_accvgpr read vgpr after write vgpr: 2 wait states
ds_bpermute_b32 v6, v0, v6, offset:4               // permute edge values
ds_bpermute_b32 v7, v0, v7, offset:4               // permute edge values
	;; [unrolled: 1-line block ×3, first 2 shown]
s_waitcnt 0                                        // wait for swizzle operation
v_accvgpr_write_b32 acc8, v5                       // 
v_accvgpr_write_b32 acc72, v6                      // 
v_accvgpr_write_b32 acc136, v7                     // 
v_accvgpr_write_b32 acc200, v8                     // 
v_accvgpr_read_b32 v5, acc216                      // glvw 13 mb 0 tt1 33 r 0
v_accvgpr_read_b32 v6, acc24                       // glvw 13 mb 0 tt1 33 r 0
v_accvgpr_read_b32 v7, acc88                       // glvw 13 mb 0 tt1 33 r 0
v_accvgpr_read_b32 v8, acc152                      // glvw 13 mb 0 tt1 33 r 0
s_nop 1                                            // v_accvgpr read vgpr after write vgpr: 2 wait states
ds_bpermute_b32 v6, v0, v6, offset:4               // permute edge values
ds_bpermute_b32 v7, v0, v7, offset:4               // permute edge values
	;; [unrolled: 1-line block ×3, first 2 shown]
s_waitcnt 0                                        // wait for swizzle operation
v_accvgpr_write_b32 acc24, v5                      // 
v_accvgpr_write_b32 acc88, v6                      // 
v_accvgpr_write_b32 acc152, v7                     // 
v_accvgpr_write_b32 acc216, v8                     // 
v_accvgpr_read_b32 v5, acc232                      // glvw 13 mb 0 tt1 34 r 0
v_accvgpr_read_b32 v6, acc40                       // glvw 13 mb 0 tt1 34 r 0
v_accvgpr_read_b32 v7, acc104                      // glvw 13 mb 0 tt1 34 r 0
v_accvgpr_read_b32 v8, acc168                      // glvw 13 mb 0 tt1 34 r 0
s_nop 1                                            // v_accvgpr read vgpr after write vgpr: 2 wait states
ds_bpermute_b32 v6, v0, v6, offset:4               // permute edge values
ds_bpermute_b32 v7, v0, v7, offset:4               // permute edge values
	;; [unrolled: 1-line block ×3, first 2 shown]
s_waitcnt 0                                        // wait for swizzle operation
v_accvgpr_write_b32 acc40, v5                      // 
v_accvgpr_write_b32 acc104, v6                     // 
v_accvgpr_write_b32 acc168, v7                     // 
v_accvgpr_write_b32 acc232, v8                     // 
v_accvgpr_read_b32 v5, acc248                      // glvw 13 mb 0 tt1 35 r 0
v_accvgpr_read_b32 v6, acc56                       // glvw 13 mb 0 tt1 35 r 0
v_accvgpr_read_b32 v7, acc120                      // glvw 13 mb 0 tt1 35 r 0
v_accvgpr_read_b32 v8, acc184                      // glvw 13 mb 0 tt1 35 r 0
s_nop 1                                            // v_accvgpr read vgpr after write vgpr: 2 wait states
ds_bpermute_b32 v6, v0, v6, offset:4               // permute edge values
ds_bpermute_b32 v7, v0, v7, offset:4               // permute edge values
	;; [unrolled: 1-line block ×3, first 2 shown]
s_waitcnt 0                                        // wait for swizzle operation
v_accvgpr_write_b32 acc56, v5                      // 
v_accvgpr_write_b32 acc120, v6                     // 
v_accvgpr_write_b32 acc184, v7                     // 
v_accvgpr_write_b32 acc248, v8                     // 
v_accvgpr_read_b32 v5, acc201                      // glvw 13 mb 0 tt1 36 r 0
v_accvgpr_read_b32 v6, acc9                        // glvw 13 mb 0 tt1 36 r 0
v_accvgpr_read_b32 v7, acc73                       // glvw 13 mb 0 tt1 36 r 0
v_accvgpr_read_b32 v8, acc137                      // glvw 13 mb 0 tt1 36 r 0
s_nop 1                                            // v_accvgpr read vgpr after write vgpr: 2 wait states
ds_bpermute_b32 v6, v0, v6, offset:4               // permute edge values
ds_bpermute_b32 v7, v0, v7, offset:4               // permute edge values
	;; [unrolled: 1-line block ×3, first 2 shown]
s_waitcnt 0                                        // wait for swizzle operation
v_accvgpr_write_b32 acc9, v5                       // 
v_accvgpr_write_b32 acc73, v6                      // 
v_accvgpr_write_b32 acc137, v7                     // 
v_accvgpr_write_b32 acc201, v8                     // 
v_accvgpr_read_b32 v5, acc217                      // glvw 13 mb 0 tt1 37 r 0
v_accvgpr_read_b32 v6, acc25                       // glvw 13 mb 0 tt1 37 r 0
v_accvgpr_read_b32 v7, acc89                       // glvw 13 mb 0 tt1 37 r 0
v_accvgpr_read_b32 v8, acc153                      // glvw 13 mb 0 tt1 37 r 0
s_nop 1                                            // v_accvgpr read vgpr after write vgpr: 2 wait states
ds_bpermute_b32 v6, v0, v6, offset:4               // permute edge values
ds_bpermute_b32 v7, v0, v7, offset:4               // permute edge values
ds_bpermute_b32 v8, v0, v8, offset:4               // permute edge values
s_waitcnt 0                                        // wait for swizzle operation
v_accvgpr_write_b32 acc25, v5                      // 
v_accvgpr_write_b32 acc89, v6                      // 
v_accvgpr_write_b32 acc153, v7                     // 
v_accvgpr_write_b32 acc217, v8                     // 
v_accvgpr_read_b32 v5, acc233                      // glvw 13 mb 0 tt1 38 r 0
v_accvgpr_read_b32 v6, acc41                       // glvw 13 mb 0 tt1 38 r 0
v_accvgpr_read_b32 v7, acc105                      // glvw 13 mb 0 tt1 38 r 0
v_accvgpr_read_b32 v8, acc169                      // glvw 13 mb 0 tt1 38 r 0
s_nop 1                                            // v_accvgpr read vgpr after write vgpr: 2 wait states
ds_bpermute_b32 v6, v0, v6, offset:4               // permute edge values
ds_bpermute_b32 v7, v0, v7, offset:4               // permute edge values
ds_bpermute_b32 v8, v0, v8, offset:4               // permute edge values
s_waitcnt 0                                        // wait for swizzle operation
v_accvgpr_write_b32 acc41, v5                      // 
v_accvgpr_write_b32 acc105, v6                     // 
v_accvgpr_write_b32 acc169, v7                     // 
v_accvgpr_write_b32 acc233, v8                     // 
v_accvgpr_read_b32 v5, acc249                      // glvw 13 mb 0 tt1 39 r 0
v_accvgpr_read_b32 v6, acc57                       // glvw 13 mb 0 tt1 39 r 0
v_accvgpr_read_b32 v7, acc121                      // glvw 13 mb 0 tt1 39 r 0
v_accvgpr_read_b32 v8, acc185                      // glvw 13 mb 0 tt1 39 r 0
s_nop 1                                            // v_accvgpr read vgpr after write vgpr: 2 wait states
ds_bpermute_b32 v6, v0, v6, offset:4               // permute edge values
ds_bpermute_b32 v7, v0, v7, offset:4               // permute edge values
	;; [unrolled: 1-line block ×3, first 2 shown]
s_waitcnt 0                                        // wait for swizzle operation
v_accvgpr_write_b32 acc57, v5                      // 
v_accvgpr_write_b32 acc121, v6                     // 
v_accvgpr_write_b32 acc185, v7                     // 
v_accvgpr_write_b32 acc249, v8                     // 
v_accvgpr_read_b32 v5, acc202                      // glvw 13 mb 0 tt1 40 r 0
v_accvgpr_read_b32 v6, acc10                       // glvw 13 mb 0 tt1 40 r 0
v_accvgpr_read_b32 v7, acc74                       // glvw 13 mb 0 tt1 40 r 0
v_accvgpr_read_b32 v8, acc138                      // glvw 13 mb 0 tt1 40 r 0
s_nop 1                                            // v_accvgpr read vgpr after write vgpr: 2 wait states
ds_bpermute_b32 v6, v0, v6, offset:4               // permute edge values
ds_bpermute_b32 v7, v0, v7, offset:4               // permute edge values
	;; [unrolled: 1-line block ×3, first 2 shown]
s_waitcnt 0                                        // wait for swizzle operation
v_accvgpr_write_b32 acc10, v5                      // 
v_accvgpr_write_b32 acc74, v6                      // 
v_accvgpr_write_b32 acc138, v7                     // 
v_accvgpr_write_b32 acc202, v8                     // 
v_accvgpr_read_b32 v5, acc218                      // glvw 13 mb 0 tt1 41 r 0
v_accvgpr_read_b32 v6, acc26                       // glvw 13 mb 0 tt1 41 r 0
v_accvgpr_read_b32 v7, acc90                       // glvw 13 mb 0 tt1 41 r 0
v_accvgpr_read_b32 v8, acc154                      // glvw 13 mb 0 tt1 41 r 0
s_nop 1                                            // v_accvgpr read vgpr after write vgpr: 2 wait states
ds_bpermute_b32 v6, v0, v6, offset:4               // permute edge values
ds_bpermute_b32 v7, v0, v7, offset:4               // permute edge values
	;; [unrolled: 1-line block ×3, first 2 shown]
s_waitcnt 0                                        // wait for swizzle operation
v_accvgpr_write_b32 acc26, v5                      // 
v_accvgpr_write_b32 acc90, v6                      // 
v_accvgpr_write_b32 acc154, v7                     // 
v_accvgpr_write_b32 acc218, v8                     // 
v_accvgpr_read_b32 v5, acc234                      // glvw 13 mb 0 tt1 42 r 0
v_accvgpr_read_b32 v6, acc42                       // glvw 13 mb 0 tt1 42 r 0
v_accvgpr_read_b32 v7, acc106                      // glvw 13 mb 0 tt1 42 r 0
v_accvgpr_read_b32 v8, acc170                      // glvw 13 mb 0 tt1 42 r 0
s_nop 1                                            // v_accvgpr read vgpr after write vgpr: 2 wait states
ds_bpermute_b32 v6, v0, v6, offset:4               // permute edge values
ds_bpermute_b32 v7, v0, v7, offset:4               // permute edge values
	;; [unrolled: 1-line block ×3, first 2 shown]
s_waitcnt 0                                        // wait for swizzle operation
v_accvgpr_write_b32 acc42, v5                      // 
v_accvgpr_write_b32 acc106, v6                     // 
v_accvgpr_write_b32 acc170, v7                     // 
v_accvgpr_write_b32 acc234, v8                     // 
v_accvgpr_read_b32 v5, acc250                      // glvw 13 mb 0 tt1 43 r 0
v_accvgpr_read_b32 v6, acc58                       // glvw 13 mb 0 tt1 43 r 0
v_accvgpr_read_b32 v7, acc122                      // glvw 13 mb 0 tt1 43 r 0
v_accvgpr_read_b32 v8, acc186                      // glvw 13 mb 0 tt1 43 r 0
s_nop 1                                            // v_accvgpr read vgpr after write vgpr: 2 wait states
ds_bpermute_b32 v6, v0, v6, offset:4               // permute edge values
ds_bpermute_b32 v7, v0, v7, offset:4               // permute edge values
	;; [unrolled: 1-line block ×3, first 2 shown]
s_waitcnt 0                                        // wait for swizzle operation
v_accvgpr_write_b32 acc58, v5                      // 
v_accvgpr_write_b32 acc122, v6                     // 
v_accvgpr_write_b32 acc186, v7                     // 
v_accvgpr_write_b32 acc250, v8                     // 
v_accvgpr_read_b32 v5, acc203                      // glvw 13 mb 0 tt1 44 r 0
v_accvgpr_read_b32 v6, acc11                       // glvw 13 mb 0 tt1 44 r 0
v_accvgpr_read_b32 v7, acc75                       // glvw 13 mb 0 tt1 44 r 0
v_accvgpr_read_b32 v8, acc139                      // glvw 13 mb 0 tt1 44 r 0
s_nop 1                                            // v_accvgpr read vgpr after write vgpr: 2 wait states
ds_bpermute_b32 v6, v0, v6, offset:4               // permute edge values
ds_bpermute_b32 v7, v0, v7, offset:4               // permute edge values
	;; [unrolled: 1-line block ×3, first 2 shown]
s_waitcnt 0                                        // wait for swizzle operation
v_accvgpr_write_b32 acc11, v5                      // 
v_accvgpr_write_b32 acc75, v6                      // 
v_accvgpr_write_b32 acc139, v7                     // 
v_accvgpr_write_b32 acc203, v8                     // 
v_accvgpr_read_b32 v5, acc219                      // glvw 13 mb 0 tt1 45 r 0
v_accvgpr_read_b32 v6, acc27                       // glvw 13 mb 0 tt1 45 r 0
v_accvgpr_read_b32 v7, acc91                       // glvw 13 mb 0 tt1 45 r 0
v_accvgpr_read_b32 v8, acc155                      // glvw 13 mb 0 tt1 45 r 0
s_nop 1                                            // v_accvgpr read vgpr after write vgpr: 2 wait states
ds_bpermute_b32 v6, v0, v6, offset:4               // permute edge values
ds_bpermute_b32 v7, v0, v7, offset:4               // permute edge values
ds_bpermute_b32 v8, v0, v8, offset:4               // permute edge values
s_waitcnt 0                                        // wait for swizzle operation
v_accvgpr_write_b32 acc27, v5                      // 
v_accvgpr_write_b32 acc91, v6                      // 
v_accvgpr_write_b32 acc155, v7                     // 
v_accvgpr_write_b32 acc219, v8                     // 
v_accvgpr_read_b32 v5, acc235                      // glvw 13 mb 0 tt1 46 r 0
v_accvgpr_read_b32 v6, acc43                       // glvw 13 mb 0 tt1 46 r 0
v_accvgpr_read_b32 v7, acc107                      // glvw 13 mb 0 tt1 46 r 0
v_accvgpr_read_b32 v8, acc171                      // glvw 13 mb 0 tt1 46 r 0
s_nop 1                                            // v_accvgpr read vgpr after write vgpr: 2 wait states
ds_bpermute_b32 v6, v0, v6, offset:4               // permute edge values
ds_bpermute_b32 v7, v0, v7, offset:4               // permute edge values
	;; [unrolled: 1-line block ×3, first 2 shown]
s_waitcnt 0                                        // wait for swizzle operation
v_accvgpr_write_b32 acc43, v5                      // 
v_accvgpr_write_b32 acc107, v6                     // 
v_accvgpr_write_b32 acc171, v7                     // 
v_accvgpr_write_b32 acc235, v8                     // 
v_accvgpr_read_b32 v5, acc251                      // glvw 13 mb 0 tt1 47 r 0
v_accvgpr_read_b32 v6, acc59                       // glvw 13 mb 0 tt1 47 r 0
v_accvgpr_read_b32 v7, acc123                      // glvw 13 mb 0 tt1 47 r 0
v_accvgpr_read_b32 v8, acc187                      // glvw 13 mb 0 tt1 47 r 0
s_nop 1                                            // v_accvgpr read vgpr after write vgpr: 2 wait states
ds_bpermute_b32 v6, v0, v6, offset:4               // permute edge values
ds_bpermute_b32 v7, v0, v7, offset:4               // permute edge values
	;; [unrolled: 1-line block ×3, first 2 shown]
s_waitcnt 0                                        // wait for swizzle operation
v_accvgpr_write_b32 acc59, v5                      // 
v_accvgpr_write_b32 acc123, v6                     // 
v_accvgpr_write_b32 acc187, v7                     // 
v_accvgpr_write_b32 acc251, v8                     // 
v_accvgpr_read_b32 v5, acc204                      // glvw 13 mb 0 tt1 48 r 0
v_accvgpr_read_b32 v6, acc12                       // glvw 13 mb 0 tt1 48 r 0
v_accvgpr_read_b32 v7, acc76                       // glvw 13 mb 0 tt1 48 r 0
v_accvgpr_read_b32 v8, acc140                      // glvw 13 mb 0 tt1 48 r 0
s_nop 1                                            // v_accvgpr read vgpr after write vgpr: 2 wait states
ds_bpermute_b32 v6, v0, v6, offset:4               // permute edge values
ds_bpermute_b32 v7, v0, v7, offset:4               // permute edge values
	;; [unrolled: 1-line block ×3, first 2 shown]
s_waitcnt 0                                        // wait for swizzle operation
v_accvgpr_write_b32 acc12, v5                      // 
v_accvgpr_write_b32 acc76, v6                      // 
v_accvgpr_write_b32 acc140, v7                     // 
v_accvgpr_write_b32 acc204, v8                     // 
v_accvgpr_read_b32 v5, acc220                      // glvw 13 mb 0 tt1 49 r 0
v_accvgpr_read_b32 v6, acc28                       // glvw 13 mb 0 tt1 49 r 0
v_accvgpr_read_b32 v7, acc92                       // glvw 13 mb 0 tt1 49 r 0
v_accvgpr_read_b32 v8, acc156                      // glvw 13 mb 0 tt1 49 r 0
s_nop 1                                            // v_accvgpr read vgpr after write vgpr: 2 wait states
ds_bpermute_b32 v6, v0, v6, offset:4               // permute edge values
ds_bpermute_b32 v7, v0, v7, offset:4               // permute edge values
	;; [unrolled: 1-line block ×3, first 2 shown]
s_waitcnt 0                                        // wait for swizzle operation
v_accvgpr_write_b32 acc28, v5                      // 
v_accvgpr_write_b32 acc92, v6                      // 
v_accvgpr_write_b32 acc156, v7                     // 
v_accvgpr_write_b32 acc220, v8                     // 
v_accvgpr_read_b32 v5, acc236                      // glvw 13 mb 0 tt1 50 r 0
v_accvgpr_read_b32 v6, acc44                       // glvw 13 mb 0 tt1 50 r 0
v_accvgpr_read_b32 v7, acc108                      // glvw 13 mb 0 tt1 50 r 0
v_accvgpr_read_b32 v8, acc172                      // glvw 13 mb 0 tt1 50 r 0
s_nop 1                                            // v_accvgpr read vgpr after write vgpr: 2 wait states
ds_bpermute_b32 v6, v0, v6, offset:4               // permute edge values
ds_bpermute_b32 v7, v0, v7, offset:4               // permute edge values
	;; [unrolled: 1-line block ×3, first 2 shown]
s_waitcnt 0                                        // wait for swizzle operation
v_accvgpr_write_b32 acc44, v5                      // 
v_accvgpr_write_b32 acc108, v6                     // 
v_accvgpr_write_b32 acc172, v7                     // 
v_accvgpr_write_b32 acc236, v8                     // 
v_accvgpr_read_b32 v5, acc252                      // glvw 13 mb 0 tt1 51 r 0
v_accvgpr_read_b32 v6, acc60                       // glvw 13 mb 0 tt1 51 r 0
v_accvgpr_read_b32 v7, acc124                      // glvw 13 mb 0 tt1 51 r 0
v_accvgpr_read_b32 v8, acc188                      // glvw 13 mb 0 tt1 51 r 0
s_nop 1                                            // v_accvgpr read vgpr after write vgpr: 2 wait states
ds_bpermute_b32 v6, v0, v6, offset:4               // permute edge values
ds_bpermute_b32 v7, v0, v7, offset:4               // permute edge values
	;; [unrolled: 1-line block ×3, first 2 shown]
s_waitcnt 0                                        // wait for swizzle operation
v_accvgpr_write_b32 acc60, v5                      // 
v_accvgpr_write_b32 acc124, v6                     // 
v_accvgpr_write_b32 acc188, v7                     // 
v_accvgpr_write_b32 acc252, v8                     // 
v_accvgpr_read_b32 v5, acc205                      // glvw 13 mb 0 tt1 52 r 0
v_accvgpr_read_b32 v6, acc13                       // glvw 13 mb 0 tt1 52 r 0
v_accvgpr_read_b32 v7, acc77                       // glvw 13 mb 0 tt1 52 r 0
v_accvgpr_read_b32 v8, acc141                      // glvw 13 mb 0 tt1 52 r 0
s_nop 1                                            // v_accvgpr read vgpr after write vgpr: 2 wait states
ds_bpermute_b32 v6, v0, v6, offset:4               // permute edge values
ds_bpermute_b32 v7, v0, v7, offset:4               // permute edge values
	;; [unrolled: 1-line block ×3, first 2 shown]
s_waitcnt 0                                        // wait for swizzle operation
v_accvgpr_write_b32 acc13, v5                      // 
v_accvgpr_write_b32 acc77, v6                      // 
v_accvgpr_write_b32 acc141, v7                     // 
v_accvgpr_write_b32 acc205, v8                     // 
v_accvgpr_read_b32 v5, acc221                      // glvw 13 mb 0 tt1 53 r 0
v_accvgpr_read_b32 v6, acc29                       // glvw 13 mb 0 tt1 53 r 0
v_accvgpr_read_b32 v7, acc93                       // glvw 13 mb 0 tt1 53 r 0
v_accvgpr_read_b32 v8, acc157                      // glvw 13 mb 0 tt1 53 r 0
s_nop 1                                            // v_accvgpr read vgpr after write vgpr: 2 wait states
ds_bpermute_b32 v6, v0, v6, offset:4               // permute edge values
ds_bpermute_b32 v7, v0, v7, offset:4               // permute edge values
	;; [unrolled: 1-line block ×3, first 2 shown]
s_waitcnt 0                                        // wait for swizzle operation
v_accvgpr_write_b32 acc29, v5                      // 
v_accvgpr_write_b32 acc93, v6                      // 
v_accvgpr_write_b32 acc157, v7                     // 
v_accvgpr_write_b32 acc221, v8                     // 
v_accvgpr_read_b32 v5, acc237                      // glvw 13 mb 0 tt1 54 r 0
v_accvgpr_read_b32 v6, acc45                       // glvw 13 mb 0 tt1 54 r 0
v_accvgpr_read_b32 v7, acc109                      // glvw 13 mb 0 tt1 54 r 0
v_accvgpr_read_b32 v8, acc173                      // glvw 13 mb 0 tt1 54 r 0
s_nop 1                                            // v_accvgpr read vgpr after write vgpr: 2 wait states
ds_bpermute_b32 v6, v0, v6, offset:4               // permute edge values
ds_bpermute_b32 v7, v0, v7, offset:4               // permute edge values
	;; [unrolled: 1-line block ×3, first 2 shown]
s_waitcnt 0                                        // wait for swizzle operation
v_accvgpr_write_b32 acc45, v5                      // 
v_accvgpr_write_b32 acc109, v6                     // 
v_accvgpr_write_b32 acc173, v7                     // 
v_accvgpr_write_b32 acc237, v8                     // 
v_accvgpr_read_b32 v5, acc253                      // glvw 13 mb 0 tt1 55 r 0
v_accvgpr_read_b32 v6, acc61                       // glvw 13 mb 0 tt1 55 r 0
v_accvgpr_read_b32 v7, acc125                      // glvw 13 mb 0 tt1 55 r 0
v_accvgpr_read_b32 v8, acc189                      // glvw 13 mb 0 tt1 55 r 0
s_nop 1                                            // v_accvgpr read vgpr after write vgpr: 2 wait states
ds_bpermute_b32 v6, v0, v6, offset:4               // permute edge values
ds_bpermute_b32 v7, v0, v7, offset:4               // permute edge values
	;; [unrolled: 1-line block ×3, first 2 shown]
s_waitcnt 0                                        // wait for swizzle operation
v_accvgpr_write_b32 acc61, v5                      // 
v_accvgpr_write_b32 acc125, v6                     // 
v_accvgpr_write_b32 acc189, v7                     // 
v_accvgpr_write_b32 acc253, v8                     // 
v_accvgpr_read_b32 v5, acc206                      // glvw 13 mb 0 tt1 56 r 0
v_accvgpr_read_b32 v6, acc14                       // glvw 13 mb 0 tt1 56 r 0
v_accvgpr_read_b32 v7, acc78                       // glvw 13 mb 0 tt1 56 r 0
v_accvgpr_read_b32 v8, acc142                      // glvw 13 mb 0 tt1 56 r 0
s_nop 1                                            // v_accvgpr read vgpr after write vgpr: 2 wait states
ds_bpermute_b32 v6, v0, v6, offset:4               // permute edge values
ds_bpermute_b32 v7, v0, v7, offset:4               // permute edge values
	;; [unrolled: 1-line block ×3, first 2 shown]
s_waitcnt 0                                        // wait for swizzle operation
v_accvgpr_write_b32 acc14, v5                      // 
v_accvgpr_write_b32 acc78, v6                      // 
v_accvgpr_write_b32 acc142, v7                     // 
v_accvgpr_write_b32 acc206, v8                     // 
v_accvgpr_read_b32 v5, acc222                      // glvw 13 mb 0 tt1 57 r 0
v_accvgpr_read_b32 v6, acc30                       // glvw 13 mb 0 tt1 57 r 0
v_accvgpr_read_b32 v7, acc94                       // glvw 13 mb 0 tt1 57 r 0
v_accvgpr_read_b32 v8, acc158                      // glvw 13 mb 0 tt1 57 r 0
s_nop 1                                            // v_accvgpr read vgpr after write vgpr: 2 wait states
ds_bpermute_b32 v6, v0, v6, offset:4               // permute edge values
ds_bpermute_b32 v7, v0, v7, offset:4               // permute edge values
	;; [unrolled: 1-line block ×3, first 2 shown]
s_waitcnt 0                                        // wait for swizzle operation
v_accvgpr_write_b32 acc30, v5                      // 
v_accvgpr_write_b32 acc94, v6                      // 
v_accvgpr_write_b32 acc158, v7                     // 
v_accvgpr_write_b32 acc222, v8                     // 
v_accvgpr_read_b32 v5, acc238                      // glvw 13 mb 0 tt1 58 r 0
v_accvgpr_read_b32 v6, acc46                       // glvw 13 mb 0 tt1 58 r 0
v_accvgpr_read_b32 v7, acc110                      // glvw 13 mb 0 tt1 58 r 0
v_accvgpr_read_b32 v8, acc174                      // glvw 13 mb 0 tt1 58 r 0
s_nop 1                                            // v_accvgpr read vgpr after write vgpr: 2 wait states
ds_bpermute_b32 v6, v0, v6, offset:4               // permute edge values
ds_bpermute_b32 v7, v0, v7, offset:4               // permute edge values
	;; [unrolled: 1-line block ×3, first 2 shown]
s_waitcnt 0                                        // wait for swizzle operation
v_accvgpr_write_b32 acc46, v5                      // 
v_accvgpr_write_b32 acc110, v6                     // 
v_accvgpr_write_b32 acc174, v7                     // 
v_accvgpr_write_b32 acc238, v8                     // 
v_accvgpr_read_b32 v5, acc254                      // glvw 13 mb 0 tt1 59 r 0
v_accvgpr_read_b32 v6, acc62                       // glvw 13 mb 0 tt1 59 r 0
v_accvgpr_read_b32 v7, acc126                      // glvw 13 mb 0 tt1 59 r 0
v_accvgpr_read_b32 v8, acc190                      // glvw 13 mb 0 tt1 59 r 0
s_nop 1                                            // v_accvgpr read vgpr after write vgpr: 2 wait states
ds_bpermute_b32 v6, v0, v6, offset:4               // permute edge values
ds_bpermute_b32 v7, v0, v7, offset:4               // permute edge values
	;; [unrolled: 1-line block ×3, first 2 shown]
s_waitcnt 0                                        // wait for swizzle operation
v_accvgpr_write_b32 acc62, v5                      // 
v_accvgpr_write_b32 acc126, v6                     // 
v_accvgpr_write_b32 acc190, v7                     // 
v_accvgpr_write_b32 acc254, v8                     // 
v_accvgpr_read_b32 v5, acc207                      // glvw 13 mb 0 tt1 60 r 0
v_accvgpr_read_b32 v6, acc15                       // glvw 13 mb 0 tt1 60 r 0
v_accvgpr_read_b32 v7, acc79                       // glvw 13 mb 0 tt1 60 r 0
v_accvgpr_read_b32 v8, acc143                      // glvw 13 mb 0 tt1 60 r 0
s_nop 1                                            // v_accvgpr read vgpr after write vgpr: 2 wait states
ds_bpermute_b32 v6, v0, v6, offset:4               // permute edge values
ds_bpermute_b32 v7, v0, v7, offset:4               // permute edge values
	;; [unrolled: 1-line block ×3, first 2 shown]
s_waitcnt 0                                        // wait for swizzle operation
v_accvgpr_write_b32 acc15, v5                      // 
v_accvgpr_write_b32 acc79, v6                      // 
v_accvgpr_write_b32 acc143, v7                     // 
v_accvgpr_write_b32 acc207, v8                     // 
v_accvgpr_read_b32 v5, acc223                      // glvw 13 mb 0 tt1 61 r 0
v_accvgpr_read_b32 v6, acc31                       // glvw 13 mb 0 tt1 61 r 0
v_accvgpr_read_b32 v7, acc95                       // glvw 13 mb 0 tt1 61 r 0
v_accvgpr_read_b32 v8, acc159                      // glvw 13 mb 0 tt1 61 r 0
s_nop 1                                            // v_accvgpr read vgpr after write vgpr: 2 wait states
ds_bpermute_b32 v6, v0, v6, offset:4               // permute edge values
ds_bpermute_b32 v7, v0, v7, offset:4               // permute edge values
ds_bpermute_b32 v8, v0, v8, offset:4               // permute edge values
s_waitcnt 0                                        // wait for swizzle operation
v_accvgpr_write_b32 acc31, v5                      // 
v_accvgpr_write_b32 acc95, v6                      // 
v_accvgpr_write_b32 acc159, v7                     // 
v_accvgpr_write_b32 acc223, v8                     // 
v_accvgpr_read_b32 v5, acc239                      // glvw 13 mb 0 tt1 62 r 0
v_accvgpr_read_b32 v6, acc47                       // glvw 13 mb 0 tt1 62 r 0
v_accvgpr_read_b32 v7, acc111                      // glvw 13 mb 0 tt1 62 r 0
v_accvgpr_read_b32 v8, acc175                      // glvw 13 mb 0 tt1 62 r 0
s_nop 1                                            // v_accvgpr read vgpr after write vgpr: 2 wait states
ds_bpermute_b32 v6, v0, v6, offset:4               // permute edge values
ds_bpermute_b32 v7, v0, v7, offset:4               // permute edge values
ds_bpermute_b32 v8, v0, v8, offset:4               // permute edge values
s_waitcnt 0                                        // wait for swizzle operation
v_accvgpr_write_b32 acc47, v5                      // 
v_accvgpr_write_b32 acc111, v6                     // 
v_accvgpr_write_b32 acc175, v7                     // 
v_accvgpr_write_b32 acc239, v8                     // 
v_accvgpr_read_b32 v5, acc255                      // glvw 13 mb 0 tt1 63 r 0
v_accvgpr_read_b32 v6, acc63                       // glvw 13 mb 0 tt1 63 r 0
v_accvgpr_read_b32 v7, acc127                      // glvw 13 mb 0 tt1 63 r 0
v_accvgpr_read_b32 v8, acc191                      // glvw 13 mb 0 tt1 63 r 0
s_nop 1                                            // v_accvgpr read vgpr after write vgpr: 2 wait states
ds_bpermute_b32 v6, v0, v6, offset:4               // permute edge values
ds_bpermute_b32 v7, v0, v7, offset:4               // permute edge values
	;; [unrolled: 1-line block ×3, first 2 shown]
s_waitcnt 0                                        // wait for swizzle operation
v_accvgpr_write_b32 acc63, v5                      // 
v_accvgpr_write_b32 acc127, v6                     // 
v_accvgpr_write_b32 acc191, v7                     // 
v_accvgpr_write_b32 acc255, v8                     // 
s_mov_b64 s[42:43], 0xFFFFFFFFFFFFFFFF             // to restore all threads active
s_or_saveexec_b64 vcc, s[42:43]                    // all threads active
s_branch label_0222                                // done shifting


/******************************************/
/* shift d1 r=14 mb=0 vw0                 */
/******************************************/
label_0218: // r14 mb0 vw0 
s_mov_b32 s42, 0                                   // 
_v_cmpx_eq_u32 s[42:43], v4, s42                   // is thread in edge glvw region
v_and_b32 v0, 63, v[vgprSerial]                    // permute register between threads
v_lshlrev_b32 v0, 2, v0                            // permute register between threads
v_accvgpr_read_b32 v5, acc128                      // glvw 14 mb 0 tt1 0 r 0
v_accvgpr_read_b32 v6, acc192                      // glvw 14 mb 0 tt1 0 r 0
v_accvgpr_read_b32 v7, acc0                        // glvw 14 mb 0 tt1 0 r 0
v_accvgpr_read_b32 v8, acc64                       // glvw 14 mb 0 tt1 0 r 0
s_nop 1                                            // v_accvgpr read vgpr after write vgpr: 2 wait states
ds_bpermute_b32 v7, v0, v7, offset:4               // permute edge values
ds_bpermute_b32 v8, v0, v8, offset:4               // permute edge values
s_waitcnt 0                                        // wait for swizzle operation
v_accvgpr_write_b32 acc0, v5                       // 
v_accvgpr_write_b32 acc64, v6                      // 
v_accvgpr_write_b32 acc128, v7                     // 
v_accvgpr_write_b32 acc192, v8                     // 
v_accvgpr_read_b32 v5, acc144                      // glvw 14 mb 0 tt1 1 r 0
v_accvgpr_read_b32 v6, acc208                      // glvw 14 mb 0 tt1 1 r 0
v_accvgpr_read_b32 v7, acc16                       // glvw 14 mb 0 tt1 1 r 0
v_accvgpr_read_b32 v8, acc80                       // glvw 14 mb 0 tt1 1 r 0
s_nop 1                                            // v_accvgpr read vgpr after write vgpr: 2 wait states
ds_bpermute_b32 v7, v0, v7, offset:4               // permute edge values
ds_bpermute_b32 v8, v0, v8, offset:4               // permute edge values
s_waitcnt 0                                        // wait for swizzle operation
v_accvgpr_write_b32 acc16, v5                      // 
v_accvgpr_write_b32 acc80, v6                      // 
v_accvgpr_write_b32 acc144, v7                     // 
v_accvgpr_write_b32 acc208, v8                     // 
v_accvgpr_read_b32 v5, acc160                      // glvw 14 mb 0 tt1 2 r 0
v_accvgpr_read_b32 v6, acc224                      // glvw 14 mb 0 tt1 2 r 0
v_accvgpr_read_b32 v7, acc32                       // glvw 14 mb 0 tt1 2 r 0
v_accvgpr_read_b32 v8, acc96                       // glvw 14 mb 0 tt1 2 r 0
s_nop 1                                            // v_accvgpr read vgpr after write vgpr: 2 wait states
ds_bpermute_b32 v7, v0, v7, offset:4               // permute edge values
ds_bpermute_b32 v8, v0, v8, offset:4               // permute edge values
s_waitcnt 0                                        // wait for swizzle operation
v_accvgpr_write_b32 acc32, v5                      // 
v_accvgpr_write_b32 acc96, v6                      // 
v_accvgpr_write_b32 acc160, v7                     // 
v_accvgpr_write_b32 acc224, v8                     // 
v_accvgpr_read_b32 v5, acc176                      // glvw 14 mb 0 tt1 3 r 0
v_accvgpr_read_b32 v6, acc240                      // glvw 14 mb 0 tt1 3 r 0
v_accvgpr_read_b32 v7, acc48                       // glvw 14 mb 0 tt1 3 r 0
v_accvgpr_read_b32 v8, acc112                      // glvw 14 mb 0 tt1 3 r 0
s_nop 1                                            // v_accvgpr read vgpr after write vgpr: 2 wait states
ds_bpermute_b32 v7, v0, v7, offset:4               // permute edge values
ds_bpermute_b32 v8, v0, v8, offset:4               // permute edge values
s_waitcnt 0                                        // wait for swizzle operation
v_accvgpr_write_b32 acc48, v5                      // 
v_accvgpr_write_b32 acc112, v6                     // 
v_accvgpr_write_b32 acc176, v7                     // 
v_accvgpr_write_b32 acc240, v8                     // 
v_accvgpr_read_b32 v5, acc129                      // glvw 14 mb 0 tt1 4 r 0
v_accvgpr_read_b32 v6, acc193                      // glvw 14 mb 0 tt1 4 r 0
v_accvgpr_read_b32 v7, acc1                        // glvw 14 mb 0 tt1 4 r 0
v_accvgpr_read_b32 v8, acc65                       // glvw 14 mb 0 tt1 4 r 0
s_nop 1                                            // v_accvgpr read vgpr after write vgpr: 2 wait states
ds_bpermute_b32 v7, v0, v7, offset:4               // permute edge values
ds_bpermute_b32 v8, v0, v8, offset:4               // permute edge values
s_waitcnt 0                                        // wait for swizzle operation
v_accvgpr_write_b32 acc1, v5                       // 
v_accvgpr_write_b32 acc65, v6                      // 
v_accvgpr_write_b32 acc129, v7                     // 
v_accvgpr_write_b32 acc193, v8                     // 
v_accvgpr_read_b32 v5, acc145                      // glvw 14 mb 0 tt1 5 r 0
v_accvgpr_read_b32 v6, acc209                      // glvw 14 mb 0 tt1 5 r 0
v_accvgpr_read_b32 v7, acc17                       // glvw 14 mb 0 tt1 5 r 0
v_accvgpr_read_b32 v8, acc81                       // glvw 14 mb 0 tt1 5 r 0
s_nop 1                                            // v_accvgpr read vgpr after write vgpr: 2 wait states
ds_bpermute_b32 v7, v0, v7, offset:4               // permute edge values
ds_bpermute_b32 v8, v0, v8, offset:4               // permute edge values
s_waitcnt 0                                        // wait for swizzle operation
v_accvgpr_write_b32 acc17, v5                      // 
v_accvgpr_write_b32 acc81, v6                      // 
v_accvgpr_write_b32 acc145, v7                     // 
v_accvgpr_write_b32 acc209, v8                     // 
v_accvgpr_read_b32 v5, acc161                      // glvw 14 mb 0 tt1 6 r 0
v_accvgpr_read_b32 v6, acc225                      // glvw 14 mb 0 tt1 6 r 0
v_accvgpr_read_b32 v7, acc33                       // glvw 14 mb 0 tt1 6 r 0
v_accvgpr_read_b32 v8, acc97                       // glvw 14 mb 0 tt1 6 r 0
s_nop 1                                            // v_accvgpr read vgpr after write vgpr: 2 wait states
ds_bpermute_b32 v7, v0, v7, offset:4               // permute edge values
ds_bpermute_b32 v8, v0, v8, offset:4               // permute edge values
s_waitcnt 0                                        // wait for swizzle operation
v_accvgpr_write_b32 acc33, v5                      // 
v_accvgpr_write_b32 acc97, v6                      // 
v_accvgpr_write_b32 acc161, v7                     // 
v_accvgpr_write_b32 acc225, v8                     // 
v_accvgpr_read_b32 v5, acc177                      // glvw 14 mb 0 tt1 7 r 0
v_accvgpr_read_b32 v6, acc241                      // glvw 14 mb 0 tt1 7 r 0
v_accvgpr_read_b32 v7, acc49                       // glvw 14 mb 0 tt1 7 r 0
v_accvgpr_read_b32 v8, acc113                      // glvw 14 mb 0 tt1 7 r 0
s_nop 1                                            // v_accvgpr read vgpr after write vgpr: 2 wait states
ds_bpermute_b32 v7, v0, v7, offset:4               // permute edge values
ds_bpermute_b32 v8, v0, v8, offset:4               // permute edge values
s_waitcnt 0                                        // wait for swizzle operation
v_accvgpr_write_b32 acc49, v5                      // 
v_accvgpr_write_b32 acc113, v6                     // 
v_accvgpr_write_b32 acc177, v7                     // 
v_accvgpr_write_b32 acc241, v8                     // 
v_accvgpr_read_b32 v5, acc130                      // glvw 14 mb 0 tt1 8 r 0
v_accvgpr_read_b32 v6, acc194                      // glvw 14 mb 0 tt1 8 r 0
v_accvgpr_read_b32 v7, acc2                        // glvw 14 mb 0 tt1 8 r 0
v_accvgpr_read_b32 v8, acc66                       // glvw 14 mb 0 tt1 8 r 0
s_nop 1                                            // v_accvgpr read vgpr after write vgpr: 2 wait states
ds_bpermute_b32 v7, v0, v7, offset:4               // permute edge values
ds_bpermute_b32 v8, v0, v8, offset:4               // permute edge values
s_waitcnt 0                                        // wait for swizzle operation
v_accvgpr_write_b32 acc2, v5                       // 
v_accvgpr_write_b32 acc66, v6                      // 
v_accvgpr_write_b32 acc130, v7                     // 
v_accvgpr_write_b32 acc194, v8                     // 
v_accvgpr_read_b32 v5, acc146                      // glvw 14 mb 0 tt1 9 r 0
v_accvgpr_read_b32 v6, acc210                      // glvw 14 mb 0 tt1 9 r 0
v_accvgpr_read_b32 v7, acc18                       // glvw 14 mb 0 tt1 9 r 0
v_accvgpr_read_b32 v8, acc82                       // glvw 14 mb 0 tt1 9 r 0
s_nop 1                                            // v_accvgpr read vgpr after write vgpr: 2 wait states
ds_bpermute_b32 v7, v0, v7, offset:4               // permute edge values
ds_bpermute_b32 v8, v0, v8, offset:4               // permute edge values
s_waitcnt 0                                        // wait for swizzle operation
v_accvgpr_write_b32 acc18, v5                      // 
v_accvgpr_write_b32 acc82, v6                      // 
v_accvgpr_write_b32 acc146, v7                     // 
v_accvgpr_write_b32 acc210, v8                     // 
v_accvgpr_read_b32 v5, acc162                      // glvw 14 mb 0 tt1 10 r 0
v_accvgpr_read_b32 v6, acc226                      // glvw 14 mb 0 tt1 10 r 0
v_accvgpr_read_b32 v7, acc34                       // glvw 14 mb 0 tt1 10 r 0
v_accvgpr_read_b32 v8, acc98                       // glvw 14 mb 0 tt1 10 r 0
s_nop 1                                            // v_accvgpr read vgpr after write vgpr: 2 wait states
ds_bpermute_b32 v7, v0, v7, offset:4               // permute edge values
ds_bpermute_b32 v8, v0, v8, offset:4               // permute edge values
s_waitcnt 0                                        // wait for swizzle operation
v_accvgpr_write_b32 acc34, v5                      // 
v_accvgpr_write_b32 acc98, v6                      // 
v_accvgpr_write_b32 acc162, v7                     // 
v_accvgpr_write_b32 acc226, v8                     // 
v_accvgpr_read_b32 v5, acc178                      // glvw 14 mb 0 tt1 11 r 0
v_accvgpr_read_b32 v6, acc242                      // glvw 14 mb 0 tt1 11 r 0
v_accvgpr_read_b32 v7, acc50                       // glvw 14 mb 0 tt1 11 r 0
v_accvgpr_read_b32 v8, acc114                      // glvw 14 mb 0 tt1 11 r 0
s_nop 1                                            // v_accvgpr read vgpr after write vgpr: 2 wait states
ds_bpermute_b32 v7, v0, v7, offset:4               // permute edge values
ds_bpermute_b32 v8, v0, v8, offset:4               // permute edge values
s_waitcnt 0                                        // wait for swizzle operation
v_accvgpr_write_b32 acc50, v5                      // 
v_accvgpr_write_b32 acc114, v6                     // 
v_accvgpr_write_b32 acc178, v7                     // 
v_accvgpr_write_b32 acc242, v8                     // 
v_accvgpr_read_b32 v5, acc131                      // glvw 14 mb 0 tt1 12 r 0
v_accvgpr_read_b32 v6, acc195                      // glvw 14 mb 0 tt1 12 r 0
v_accvgpr_read_b32 v7, acc3                        // glvw 14 mb 0 tt1 12 r 0
v_accvgpr_read_b32 v8, acc67                       // glvw 14 mb 0 tt1 12 r 0
s_nop 1                                            // v_accvgpr read vgpr after write vgpr: 2 wait states
ds_bpermute_b32 v7, v0, v7, offset:4               // permute edge values
ds_bpermute_b32 v8, v0, v8, offset:4               // permute edge values
s_waitcnt 0                                        // wait for swizzle operation
v_accvgpr_write_b32 acc3, v5                       // 
v_accvgpr_write_b32 acc67, v6                      // 
v_accvgpr_write_b32 acc131, v7                     // 
v_accvgpr_write_b32 acc195, v8                     // 
v_accvgpr_read_b32 v5, acc147                      // glvw 14 mb 0 tt1 13 r 0
v_accvgpr_read_b32 v6, acc211                      // glvw 14 mb 0 tt1 13 r 0
v_accvgpr_read_b32 v7, acc19                       // glvw 14 mb 0 tt1 13 r 0
v_accvgpr_read_b32 v8, acc83                       // glvw 14 mb 0 tt1 13 r 0
s_nop 1                                            // v_accvgpr read vgpr after write vgpr: 2 wait states
ds_bpermute_b32 v7, v0, v7, offset:4               // permute edge values
ds_bpermute_b32 v8, v0, v8, offset:4               // permute edge values
s_waitcnt 0                                        // wait for swizzle operation
v_accvgpr_write_b32 acc19, v5                      // 
v_accvgpr_write_b32 acc83, v6                      // 
v_accvgpr_write_b32 acc147, v7                     // 
v_accvgpr_write_b32 acc211, v8                     // 
v_accvgpr_read_b32 v5, acc163                      // glvw 14 mb 0 tt1 14 r 0
v_accvgpr_read_b32 v6, acc227                      // glvw 14 mb 0 tt1 14 r 0
v_accvgpr_read_b32 v7, acc35                       // glvw 14 mb 0 tt1 14 r 0
v_accvgpr_read_b32 v8, acc99                       // glvw 14 mb 0 tt1 14 r 0
s_nop 1                                            // v_accvgpr read vgpr after write vgpr: 2 wait states
ds_bpermute_b32 v7, v0, v7, offset:4               // permute edge values
ds_bpermute_b32 v8, v0, v8, offset:4               // permute edge values
s_waitcnt 0                                        // wait for swizzle operation
v_accvgpr_write_b32 acc35, v5                      // 
v_accvgpr_write_b32 acc99, v6                      // 
v_accvgpr_write_b32 acc163, v7                     // 
v_accvgpr_write_b32 acc227, v8                     // 
v_accvgpr_read_b32 v5, acc179                      // glvw 14 mb 0 tt1 15 r 0
v_accvgpr_read_b32 v6, acc243                      // glvw 14 mb 0 tt1 15 r 0
v_accvgpr_read_b32 v7, acc51                       // glvw 14 mb 0 tt1 15 r 0
v_accvgpr_read_b32 v8, acc115                      // glvw 14 mb 0 tt1 15 r 0
s_nop 1                                            // v_accvgpr read vgpr after write vgpr: 2 wait states
ds_bpermute_b32 v7, v0, v7, offset:4               // permute edge values
ds_bpermute_b32 v8, v0, v8, offset:4               // permute edge values
s_waitcnt 0                                        // wait for swizzle operation
v_accvgpr_write_b32 acc51, v5                      // 
v_accvgpr_write_b32 acc115, v6                     // 
v_accvgpr_write_b32 acc179, v7                     // 
v_accvgpr_write_b32 acc243, v8                     // 
v_accvgpr_read_b32 v5, acc132                      // glvw 14 mb 0 tt1 16 r 0
v_accvgpr_read_b32 v6, acc196                      // glvw 14 mb 0 tt1 16 r 0
v_accvgpr_read_b32 v7, acc4                        // glvw 14 mb 0 tt1 16 r 0
v_accvgpr_read_b32 v8, acc68                       // glvw 14 mb 0 tt1 16 r 0
s_nop 1                                            // v_accvgpr read vgpr after write vgpr: 2 wait states
ds_bpermute_b32 v7, v0, v7, offset:4               // permute edge values
ds_bpermute_b32 v8, v0, v8, offset:4               // permute edge values
s_waitcnt 0                                        // wait for swizzle operation
v_accvgpr_write_b32 acc4, v5                       // 
v_accvgpr_write_b32 acc68, v6                      // 
v_accvgpr_write_b32 acc132, v7                     // 
v_accvgpr_write_b32 acc196, v8                     // 
v_accvgpr_read_b32 v5, acc148                      // glvw 14 mb 0 tt1 17 r 0
v_accvgpr_read_b32 v6, acc212                      // glvw 14 mb 0 tt1 17 r 0
v_accvgpr_read_b32 v7, acc20                       // glvw 14 mb 0 tt1 17 r 0
v_accvgpr_read_b32 v8, acc84                       // glvw 14 mb 0 tt1 17 r 0
s_nop 1                                            // v_accvgpr read vgpr after write vgpr: 2 wait states
ds_bpermute_b32 v7, v0, v7, offset:4               // permute edge values
ds_bpermute_b32 v8, v0, v8, offset:4               // permute edge values
s_waitcnt 0                                        // wait for swizzle operation
v_accvgpr_write_b32 acc20, v5                      // 
v_accvgpr_write_b32 acc84, v6                      // 
v_accvgpr_write_b32 acc148, v7                     // 
v_accvgpr_write_b32 acc212, v8                     // 
v_accvgpr_read_b32 v5, acc164                      // glvw 14 mb 0 tt1 18 r 0
v_accvgpr_read_b32 v6, acc228                      // glvw 14 mb 0 tt1 18 r 0
v_accvgpr_read_b32 v7, acc36                       // glvw 14 mb 0 tt1 18 r 0
v_accvgpr_read_b32 v8, acc100                      // glvw 14 mb 0 tt1 18 r 0
s_nop 1                                            // v_accvgpr read vgpr after write vgpr: 2 wait states
ds_bpermute_b32 v7, v0, v7, offset:4               // permute edge values
ds_bpermute_b32 v8, v0, v8, offset:4               // permute edge values
s_waitcnt 0                                        // wait for swizzle operation
v_accvgpr_write_b32 acc36, v5                      // 
v_accvgpr_write_b32 acc100, v6                     // 
v_accvgpr_write_b32 acc164, v7                     // 
v_accvgpr_write_b32 acc228, v8                     // 
v_accvgpr_read_b32 v5, acc180                      // glvw 14 mb 0 tt1 19 r 0
v_accvgpr_read_b32 v6, acc244                      // glvw 14 mb 0 tt1 19 r 0
v_accvgpr_read_b32 v7, acc52                       // glvw 14 mb 0 tt1 19 r 0
v_accvgpr_read_b32 v8, acc116                      // glvw 14 mb 0 tt1 19 r 0
s_nop 1                                            // v_accvgpr read vgpr after write vgpr: 2 wait states
ds_bpermute_b32 v7, v0, v7, offset:4               // permute edge values
ds_bpermute_b32 v8, v0, v8, offset:4               // permute edge values
s_waitcnt 0                                        // wait for swizzle operation
v_accvgpr_write_b32 acc52, v5                      // 
v_accvgpr_write_b32 acc116, v6                     // 
v_accvgpr_write_b32 acc180, v7                     // 
v_accvgpr_write_b32 acc244, v8                     // 
v_accvgpr_read_b32 v5, acc133                      // glvw 14 mb 0 tt1 20 r 0
v_accvgpr_read_b32 v6, acc197                      // glvw 14 mb 0 tt1 20 r 0
v_accvgpr_read_b32 v7, acc5                        // glvw 14 mb 0 tt1 20 r 0
v_accvgpr_read_b32 v8, acc69                       // glvw 14 mb 0 tt1 20 r 0
s_nop 1                                            // v_accvgpr read vgpr after write vgpr: 2 wait states
ds_bpermute_b32 v7, v0, v7, offset:4               // permute edge values
ds_bpermute_b32 v8, v0, v8, offset:4               // permute edge values
s_waitcnt 0                                        // wait for swizzle operation
v_accvgpr_write_b32 acc5, v5                       // 
v_accvgpr_write_b32 acc69, v6                      // 
v_accvgpr_write_b32 acc133, v7                     // 
v_accvgpr_write_b32 acc197, v8                     // 
v_accvgpr_read_b32 v5, acc149                      // glvw 14 mb 0 tt1 21 r 0
v_accvgpr_read_b32 v6, acc213                      // glvw 14 mb 0 tt1 21 r 0
v_accvgpr_read_b32 v7, acc21                       // glvw 14 mb 0 tt1 21 r 0
v_accvgpr_read_b32 v8, acc85                       // glvw 14 mb 0 tt1 21 r 0
s_nop 1                                            // v_accvgpr read vgpr after write vgpr: 2 wait states
ds_bpermute_b32 v7, v0, v7, offset:4               // permute edge values
ds_bpermute_b32 v8, v0, v8, offset:4               // permute edge values
s_waitcnt 0                                        // wait for swizzle operation
v_accvgpr_write_b32 acc21, v5                      // 
v_accvgpr_write_b32 acc85, v6                      // 
v_accvgpr_write_b32 acc149, v7                     // 
v_accvgpr_write_b32 acc213, v8                     // 
v_accvgpr_read_b32 v5, acc165                      // glvw 14 mb 0 tt1 22 r 0
v_accvgpr_read_b32 v6, acc229                      // glvw 14 mb 0 tt1 22 r 0
v_accvgpr_read_b32 v7, acc37                       // glvw 14 mb 0 tt1 22 r 0
v_accvgpr_read_b32 v8, acc101                      // glvw 14 mb 0 tt1 22 r 0
s_nop 1                                            // v_accvgpr read vgpr after write vgpr: 2 wait states
ds_bpermute_b32 v7, v0, v7, offset:4               // permute edge values
ds_bpermute_b32 v8, v0, v8, offset:4               // permute edge values
s_waitcnt 0                                        // wait for swizzle operation
v_accvgpr_write_b32 acc37, v5                      // 
v_accvgpr_write_b32 acc101, v6                     // 
v_accvgpr_write_b32 acc165, v7                     // 
v_accvgpr_write_b32 acc229, v8                     // 
v_accvgpr_read_b32 v5, acc181                      // glvw 14 mb 0 tt1 23 r 0
v_accvgpr_read_b32 v6, acc245                      // glvw 14 mb 0 tt1 23 r 0
v_accvgpr_read_b32 v7, acc53                       // glvw 14 mb 0 tt1 23 r 0
v_accvgpr_read_b32 v8, acc117                      // glvw 14 mb 0 tt1 23 r 0
s_nop 1                                            // v_accvgpr read vgpr after write vgpr: 2 wait states
ds_bpermute_b32 v7, v0, v7, offset:4               // permute edge values
ds_bpermute_b32 v8, v0, v8, offset:4               // permute edge values
s_waitcnt 0                                        // wait for swizzle operation
v_accvgpr_write_b32 acc53, v5                      // 
v_accvgpr_write_b32 acc117, v6                     // 
v_accvgpr_write_b32 acc181, v7                     // 
v_accvgpr_write_b32 acc245, v8                     // 
v_accvgpr_read_b32 v5, acc134                      // glvw 14 mb 0 tt1 24 r 0
v_accvgpr_read_b32 v6, acc198                      // glvw 14 mb 0 tt1 24 r 0
v_accvgpr_read_b32 v7, acc6                        // glvw 14 mb 0 tt1 24 r 0
v_accvgpr_read_b32 v8, acc70                       // glvw 14 mb 0 tt1 24 r 0
s_nop 1                                            // v_accvgpr read vgpr after write vgpr: 2 wait states
ds_bpermute_b32 v7, v0, v7, offset:4               // permute edge values
ds_bpermute_b32 v8, v0, v8, offset:4               // permute edge values
s_waitcnt 0                                        // wait for swizzle operation
v_accvgpr_write_b32 acc6, v5                       // 
v_accvgpr_write_b32 acc70, v6                      // 
v_accvgpr_write_b32 acc134, v7                     // 
v_accvgpr_write_b32 acc198, v8                     // 
v_accvgpr_read_b32 v5, acc150                      // glvw 14 mb 0 tt1 25 r 0
v_accvgpr_read_b32 v6, acc214                      // glvw 14 mb 0 tt1 25 r 0
v_accvgpr_read_b32 v7, acc22                       // glvw 14 mb 0 tt1 25 r 0
v_accvgpr_read_b32 v8, acc86                       // glvw 14 mb 0 tt1 25 r 0
s_nop 1                                            // v_accvgpr read vgpr after write vgpr: 2 wait states
ds_bpermute_b32 v7, v0, v7, offset:4               // permute edge values
ds_bpermute_b32 v8, v0, v8, offset:4               // permute edge values
s_waitcnt 0                                        // wait for swizzle operation
v_accvgpr_write_b32 acc22, v5                      // 
v_accvgpr_write_b32 acc86, v6                      // 
v_accvgpr_write_b32 acc150, v7                     // 
v_accvgpr_write_b32 acc214, v8                     // 
v_accvgpr_read_b32 v5, acc166                      // glvw 14 mb 0 tt1 26 r 0
v_accvgpr_read_b32 v6, acc230                      // glvw 14 mb 0 tt1 26 r 0
v_accvgpr_read_b32 v7, acc38                       // glvw 14 mb 0 tt1 26 r 0
v_accvgpr_read_b32 v8, acc102                      // glvw 14 mb 0 tt1 26 r 0
s_nop 1                                            // v_accvgpr read vgpr after write vgpr: 2 wait states
ds_bpermute_b32 v7, v0, v7, offset:4               // permute edge values
ds_bpermute_b32 v8, v0, v8, offset:4               // permute edge values
s_waitcnt 0                                        // wait for swizzle operation
v_accvgpr_write_b32 acc38, v5                      // 
v_accvgpr_write_b32 acc102, v6                     // 
v_accvgpr_write_b32 acc166, v7                     // 
v_accvgpr_write_b32 acc230, v8                     // 
v_accvgpr_read_b32 v5, acc182                      // glvw 14 mb 0 tt1 27 r 0
v_accvgpr_read_b32 v6, acc246                      // glvw 14 mb 0 tt1 27 r 0
v_accvgpr_read_b32 v7, acc54                       // glvw 14 mb 0 tt1 27 r 0
v_accvgpr_read_b32 v8, acc118                      // glvw 14 mb 0 tt1 27 r 0
s_nop 1                                            // v_accvgpr read vgpr after write vgpr: 2 wait states
ds_bpermute_b32 v7, v0, v7, offset:4               // permute edge values
ds_bpermute_b32 v8, v0, v8, offset:4               // permute edge values
s_waitcnt 0                                        // wait for swizzle operation
v_accvgpr_write_b32 acc54, v5                      // 
v_accvgpr_write_b32 acc118, v6                     // 
v_accvgpr_write_b32 acc182, v7                     // 
v_accvgpr_write_b32 acc246, v8                     // 
v_accvgpr_read_b32 v5, acc135                      // glvw 14 mb 0 tt1 28 r 0
v_accvgpr_read_b32 v6, acc199                      // glvw 14 mb 0 tt1 28 r 0
v_accvgpr_read_b32 v7, acc7                        // glvw 14 mb 0 tt1 28 r 0
v_accvgpr_read_b32 v8, acc71                       // glvw 14 mb 0 tt1 28 r 0
s_nop 1                                            // v_accvgpr read vgpr after write vgpr: 2 wait states
ds_bpermute_b32 v7, v0, v7, offset:4               // permute edge values
ds_bpermute_b32 v8, v0, v8, offset:4               // permute edge values
s_waitcnt 0                                        // wait for swizzle operation
v_accvgpr_write_b32 acc7, v5                       // 
v_accvgpr_write_b32 acc71, v6                      // 
v_accvgpr_write_b32 acc135, v7                     // 
v_accvgpr_write_b32 acc199, v8                     // 
v_accvgpr_read_b32 v5, acc151                      // glvw 14 mb 0 tt1 29 r 0
v_accvgpr_read_b32 v6, acc215                      // glvw 14 mb 0 tt1 29 r 0
v_accvgpr_read_b32 v7, acc23                       // glvw 14 mb 0 tt1 29 r 0
v_accvgpr_read_b32 v8, acc87                       // glvw 14 mb 0 tt1 29 r 0
s_nop 1                                            // v_accvgpr read vgpr after write vgpr: 2 wait states
ds_bpermute_b32 v7, v0, v7, offset:4               // permute edge values
ds_bpermute_b32 v8, v0, v8, offset:4               // permute edge values
s_waitcnt 0                                        // wait for swizzle operation
v_accvgpr_write_b32 acc23, v5                      // 
v_accvgpr_write_b32 acc87, v6                      // 
v_accvgpr_write_b32 acc151, v7                     // 
v_accvgpr_write_b32 acc215, v8                     // 
v_accvgpr_read_b32 v5, acc167                      // glvw 14 mb 0 tt1 30 r 0
v_accvgpr_read_b32 v6, acc231                      // glvw 14 mb 0 tt1 30 r 0
v_accvgpr_read_b32 v7, acc39                       // glvw 14 mb 0 tt1 30 r 0
v_accvgpr_read_b32 v8, acc103                      // glvw 14 mb 0 tt1 30 r 0
s_nop 1                                            // v_accvgpr read vgpr after write vgpr: 2 wait states
ds_bpermute_b32 v7, v0, v7, offset:4               // permute edge values
ds_bpermute_b32 v8, v0, v8, offset:4               // permute edge values
s_waitcnt 0                                        // wait for swizzle operation
v_accvgpr_write_b32 acc39, v5                      // 
v_accvgpr_write_b32 acc103, v6                     // 
v_accvgpr_write_b32 acc167, v7                     // 
v_accvgpr_write_b32 acc231, v8                     // 
v_accvgpr_read_b32 v5, acc183                      // glvw 14 mb 0 tt1 31 r 0
v_accvgpr_read_b32 v6, acc247                      // glvw 14 mb 0 tt1 31 r 0
v_accvgpr_read_b32 v7, acc55                       // glvw 14 mb 0 tt1 31 r 0
v_accvgpr_read_b32 v8, acc119                      // glvw 14 mb 0 tt1 31 r 0
s_nop 1                                            // v_accvgpr read vgpr after write vgpr: 2 wait states
ds_bpermute_b32 v7, v0, v7, offset:4               // permute edge values
ds_bpermute_b32 v8, v0, v8, offset:4               // permute edge values
s_waitcnt 0                                        // wait for swizzle operation
v_accvgpr_write_b32 acc55, v5                      // 
v_accvgpr_write_b32 acc119, v6                     // 
v_accvgpr_write_b32 acc183, v7                     // 
v_accvgpr_write_b32 acc247, v8                     // 
v_accvgpr_read_b32 v5, acc136                      // glvw 14 mb 0 tt1 32 r 0
v_accvgpr_read_b32 v6, acc200                      // glvw 14 mb 0 tt1 32 r 0
v_accvgpr_read_b32 v7, acc8                        // glvw 14 mb 0 tt1 32 r 0
v_accvgpr_read_b32 v8, acc72                       // glvw 14 mb 0 tt1 32 r 0
s_nop 1                                            // v_accvgpr read vgpr after write vgpr: 2 wait states
ds_bpermute_b32 v7, v0, v7, offset:4               // permute edge values
ds_bpermute_b32 v8, v0, v8, offset:4               // permute edge values
s_waitcnt 0                                        // wait for swizzle operation
v_accvgpr_write_b32 acc8, v5                       // 
v_accvgpr_write_b32 acc72, v6                      // 
v_accvgpr_write_b32 acc136, v7                     // 
v_accvgpr_write_b32 acc200, v8                     // 
v_accvgpr_read_b32 v5, acc152                      // glvw 14 mb 0 tt1 33 r 0
v_accvgpr_read_b32 v6, acc216                      // glvw 14 mb 0 tt1 33 r 0
v_accvgpr_read_b32 v7, acc24                       // glvw 14 mb 0 tt1 33 r 0
v_accvgpr_read_b32 v8, acc88                       // glvw 14 mb 0 tt1 33 r 0
s_nop 1                                            // v_accvgpr read vgpr after write vgpr: 2 wait states
ds_bpermute_b32 v7, v0, v7, offset:4               // permute edge values
ds_bpermute_b32 v8, v0, v8, offset:4               // permute edge values
s_waitcnt 0                                        // wait for swizzle operation
v_accvgpr_write_b32 acc24, v5                      // 
v_accvgpr_write_b32 acc88, v6                      // 
v_accvgpr_write_b32 acc152, v7                     // 
v_accvgpr_write_b32 acc216, v8                     // 
v_accvgpr_read_b32 v5, acc168                      // glvw 14 mb 0 tt1 34 r 0
v_accvgpr_read_b32 v6, acc232                      // glvw 14 mb 0 tt1 34 r 0
v_accvgpr_read_b32 v7, acc40                       // glvw 14 mb 0 tt1 34 r 0
v_accvgpr_read_b32 v8, acc104                      // glvw 14 mb 0 tt1 34 r 0
s_nop 1                                            // v_accvgpr read vgpr after write vgpr: 2 wait states
ds_bpermute_b32 v7, v0, v7, offset:4               // permute edge values
ds_bpermute_b32 v8, v0, v8, offset:4               // permute edge values
s_waitcnt 0                                        // wait for swizzle operation
v_accvgpr_write_b32 acc40, v5                      // 
v_accvgpr_write_b32 acc104, v6                     // 
v_accvgpr_write_b32 acc168, v7                     // 
v_accvgpr_write_b32 acc232, v8                     // 
v_accvgpr_read_b32 v5, acc184                      // glvw 14 mb 0 tt1 35 r 0
v_accvgpr_read_b32 v6, acc248                      // glvw 14 mb 0 tt1 35 r 0
v_accvgpr_read_b32 v7, acc56                       // glvw 14 mb 0 tt1 35 r 0
v_accvgpr_read_b32 v8, acc120                      // glvw 14 mb 0 tt1 35 r 0
s_nop 1                                            // v_accvgpr read vgpr after write vgpr: 2 wait states
ds_bpermute_b32 v7, v0, v7, offset:4               // permute edge values
ds_bpermute_b32 v8, v0, v8, offset:4               // permute edge values
s_waitcnt 0                                        // wait for swizzle operation
v_accvgpr_write_b32 acc56, v5                      // 
v_accvgpr_write_b32 acc120, v6                     // 
v_accvgpr_write_b32 acc184, v7                     // 
v_accvgpr_write_b32 acc248, v8                     // 
v_accvgpr_read_b32 v5, acc137                      // glvw 14 mb 0 tt1 36 r 0
v_accvgpr_read_b32 v6, acc201                      // glvw 14 mb 0 tt1 36 r 0
v_accvgpr_read_b32 v7, acc9                        // glvw 14 mb 0 tt1 36 r 0
v_accvgpr_read_b32 v8, acc73                       // glvw 14 mb 0 tt1 36 r 0
s_nop 1                                            // v_accvgpr read vgpr after write vgpr: 2 wait states
ds_bpermute_b32 v7, v0, v7, offset:4               // permute edge values
ds_bpermute_b32 v8, v0, v8, offset:4               // permute edge values
s_waitcnt 0                                        // wait for swizzle operation
v_accvgpr_write_b32 acc9, v5                       // 
v_accvgpr_write_b32 acc73, v6                      // 
v_accvgpr_write_b32 acc137, v7                     // 
v_accvgpr_write_b32 acc201, v8                     // 
v_accvgpr_read_b32 v5, acc153                      // glvw 14 mb 0 tt1 37 r 0
v_accvgpr_read_b32 v6, acc217                      // glvw 14 mb 0 tt1 37 r 0
v_accvgpr_read_b32 v7, acc25                       // glvw 14 mb 0 tt1 37 r 0
v_accvgpr_read_b32 v8, acc89                       // glvw 14 mb 0 tt1 37 r 0
s_nop 1                                            // v_accvgpr read vgpr after write vgpr: 2 wait states
ds_bpermute_b32 v7, v0, v7, offset:4               // permute edge values
ds_bpermute_b32 v8, v0, v8, offset:4               // permute edge values
s_waitcnt 0                                        // wait for swizzle operation
v_accvgpr_write_b32 acc25, v5                      // 
v_accvgpr_write_b32 acc89, v6                      // 
v_accvgpr_write_b32 acc153, v7                     // 
v_accvgpr_write_b32 acc217, v8                     // 
v_accvgpr_read_b32 v5, acc169                      // glvw 14 mb 0 tt1 38 r 0
v_accvgpr_read_b32 v6, acc233                      // glvw 14 mb 0 tt1 38 r 0
v_accvgpr_read_b32 v7, acc41                       // glvw 14 mb 0 tt1 38 r 0
v_accvgpr_read_b32 v8, acc105                      // glvw 14 mb 0 tt1 38 r 0
s_nop 1                                            // v_accvgpr read vgpr after write vgpr: 2 wait states
ds_bpermute_b32 v7, v0, v7, offset:4               // permute edge values
ds_bpermute_b32 v8, v0, v8, offset:4               // permute edge values
s_waitcnt 0                                        // wait for swizzle operation
v_accvgpr_write_b32 acc41, v5                      // 
v_accvgpr_write_b32 acc105, v6                     // 
v_accvgpr_write_b32 acc169, v7                     // 
v_accvgpr_write_b32 acc233, v8                     // 
v_accvgpr_read_b32 v5, acc185                      // glvw 14 mb 0 tt1 39 r 0
v_accvgpr_read_b32 v6, acc249                      // glvw 14 mb 0 tt1 39 r 0
v_accvgpr_read_b32 v7, acc57                       // glvw 14 mb 0 tt1 39 r 0
v_accvgpr_read_b32 v8, acc121                      // glvw 14 mb 0 tt1 39 r 0
s_nop 1                                            // v_accvgpr read vgpr after write vgpr: 2 wait states
ds_bpermute_b32 v7, v0, v7, offset:4               // permute edge values
ds_bpermute_b32 v8, v0, v8, offset:4               // permute edge values
s_waitcnt 0                                        // wait for swizzle operation
v_accvgpr_write_b32 acc57, v5                      // 
v_accvgpr_write_b32 acc121, v6                     // 
v_accvgpr_write_b32 acc185, v7                     // 
v_accvgpr_write_b32 acc249, v8                     // 
v_accvgpr_read_b32 v5, acc138                      // glvw 14 mb 0 tt1 40 r 0
v_accvgpr_read_b32 v6, acc202                      // glvw 14 mb 0 tt1 40 r 0
v_accvgpr_read_b32 v7, acc10                       // glvw 14 mb 0 tt1 40 r 0
v_accvgpr_read_b32 v8, acc74                       // glvw 14 mb 0 tt1 40 r 0
s_nop 1                                            // v_accvgpr read vgpr after write vgpr: 2 wait states
ds_bpermute_b32 v7, v0, v7, offset:4               // permute edge values
ds_bpermute_b32 v8, v0, v8, offset:4               // permute edge values
s_waitcnt 0                                        // wait for swizzle operation
v_accvgpr_write_b32 acc10, v5                      // 
v_accvgpr_write_b32 acc74, v6                      // 
v_accvgpr_write_b32 acc138, v7                     // 
v_accvgpr_write_b32 acc202, v8                     // 
v_accvgpr_read_b32 v5, acc154                      // glvw 14 mb 0 tt1 41 r 0
v_accvgpr_read_b32 v6, acc218                      // glvw 14 mb 0 tt1 41 r 0
v_accvgpr_read_b32 v7, acc26                       // glvw 14 mb 0 tt1 41 r 0
v_accvgpr_read_b32 v8, acc90                       // glvw 14 mb 0 tt1 41 r 0
s_nop 1                                            // v_accvgpr read vgpr after write vgpr: 2 wait states
ds_bpermute_b32 v7, v0, v7, offset:4               // permute edge values
ds_bpermute_b32 v8, v0, v8, offset:4               // permute edge values
s_waitcnt 0                                        // wait for swizzle operation
v_accvgpr_write_b32 acc26, v5                      // 
v_accvgpr_write_b32 acc90, v6                      // 
v_accvgpr_write_b32 acc154, v7                     // 
v_accvgpr_write_b32 acc218, v8                     // 
v_accvgpr_read_b32 v5, acc170                      // glvw 14 mb 0 tt1 42 r 0
v_accvgpr_read_b32 v6, acc234                      // glvw 14 mb 0 tt1 42 r 0
v_accvgpr_read_b32 v7, acc42                       // glvw 14 mb 0 tt1 42 r 0
v_accvgpr_read_b32 v8, acc106                      // glvw 14 mb 0 tt1 42 r 0
s_nop 1                                            // v_accvgpr read vgpr after write vgpr: 2 wait states
ds_bpermute_b32 v7, v0, v7, offset:4               // permute edge values
ds_bpermute_b32 v8, v0, v8, offset:4               // permute edge values
s_waitcnt 0                                        // wait for swizzle operation
v_accvgpr_write_b32 acc42, v5                      // 
v_accvgpr_write_b32 acc106, v6                     // 
v_accvgpr_write_b32 acc170, v7                     // 
v_accvgpr_write_b32 acc234, v8                     // 
v_accvgpr_read_b32 v5, acc186                      // glvw 14 mb 0 tt1 43 r 0
v_accvgpr_read_b32 v6, acc250                      // glvw 14 mb 0 tt1 43 r 0
v_accvgpr_read_b32 v7, acc58                       // glvw 14 mb 0 tt1 43 r 0
v_accvgpr_read_b32 v8, acc122                      // glvw 14 mb 0 tt1 43 r 0
s_nop 1                                            // v_accvgpr read vgpr after write vgpr: 2 wait states
ds_bpermute_b32 v7, v0, v7, offset:4               // permute edge values
ds_bpermute_b32 v8, v0, v8, offset:4               // permute edge values
s_waitcnt 0                                        // wait for swizzle operation
v_accvgpr_write_b32 acc58, v5                      // 
v_accvgpr_write_b32 acc122, v6                     // 
v_accvgpr_write_b32 acc186, v7                     // 
v_accvgpr_write_b32 acc250, v8                     // 
v_accvgpr_read_b32 v5, acc139                      // glvw 14 mb 0 tt1 44 r 0
v_accvgpr_read_b32 v6, acc203                      // glvw 14 mb 0 tt1 44 r 0
v_accvgpr_read_b32 v7, acc11                       // glvw 14 mb 0 tt1 44 r 0
v_accvgpr_read_b32 v8, acc75                       // glvw 14 mb 0 tt1 44 r 0
s_nop 1                                            // v_accvgpr read vgpr after write vgpr: 2 wait states
ds_bpermute_b32 v7, v0, v7, offset:4               // permute edge values
ds_bpermute_b32 v8, v0, v8, offset:4               // permute edge values
s_waitcnt 0                                        // wait for swizzle operation
v_accvgpr_write_b32 acc11, v5                      // 
v_accvgpr_write_b32 acc75, v6                      // 
v_accvgpr_write_b32 acc139, v7                     // 
v_accvgpr_write_b32 acc203, v8                     // 
v_accvgpr_read_b32 v5, acc155                      // glvw 14 mb 0 tt1 45 r 0
v_accvgpr_read_b32 v6, acc219                      // glvw 14 mb 0 tt1 45 r 0
v_accvgpr_read_b32 v7, acc27                       // glvw 14 mb 0 tt1 45 r 0
v_accvgpr_read_b32 v8, acc91                       // glvw 14 mb 0 tt1 45 r 0
s_nop 1                                            // v_accvgpr read vgpr after write vgpr: 2 wait states
ds_bpermute_b32 v7, v0, v7, offset:4               // permute edge values
ds_bpermute_b32 v8, v0, v8, offset:4               // permute edge values
s_waitcnt 0                                        // wait for swizzle operation
v_accvgpr_write_b32 acc27, v5                      // 
v_accvgpr_write_b32 acc91, v6                      // 
v_accvgpr_write_b32 acc155, v7                     // 
v_accvgpr_write_b32 acc219, v8                     // 
v_accvgpr_read_b32 v5, acc171                      // glvw 14 mb 0 tt1 46 r 0
v_accvgpr_read_b32 v6, acc235                      // glvw 14 mb 0 tt1 46 r 0
v_accvgpr_read_b32 v7, acc43                       // glvw 14 mb 0 tt1 46 r 0
v_accvgpr_read_b32 v8, acc107                      // glvw 14 mb 0 tt1 46 r 0
s_nop 1                                            // v_accvgpr read vgpr after write vgpr: 2 wait states
ds_bpermute_b32 v7, v0, v7, offset:4               // permute edge values
ds_bpermute_b32 v8, v0, v8, offset:4               // permute edge values
s_waitcnt 0                                        // wait for swizzle operation
v_accvgpr_write_b32 acc43, v5                      // 
v_accvgpr_write_b32 acc107, v6                     // 
v_accvgpr_write_b32 acc171, v7                     // 
v_accvgpr_write_b32 acc235, v8                     // 
v_accvgpr_read_b32 v5, acc187                      // glvw 14 mb 0 tt1 47 r 0
v_accvgpr_read_b32 v6, acc251                      // glvw 14 mb 0 tt1 47 r 0
v_accvgpr_read_b32 v7, acc59                       // glvw 14 mb 0 tt1 47 r 0
v_accvgpr_read_b32 v8, acc123                      // glvw 14 mb 0 tt1 47 r 0
s_nop 1                                            // v_accvgpr read vgpr after write vgpr: 2 wait states
ds_bpermute_b32 v7, v0, v7, offset:4               // permute edge values
ds_bpermute_b32 v8, v0, v8, offset:4               // permute edge values
s_waitcnt 0                                        // wait for swizzle operation
v_accvgpr_write_b32 acc59, v5                      // 
v_accvgpr_write_b32 acc123, v6                     // 
v_accvgpr_write_b32 acc187, v7                     // 
v_accvgpr_write_b32 acc251, v8                     // 
v_accvgpr_read_b32 v5, acc140                      // glvw 14 mb 0 tt1 48 r 0
v_accvgpr_read_b32 v6, acc204                      // glvw 14 mb 0 tt1 48 r 0
v_accvgpr_read_b32 v7, acc12                       // glvw 14 mb 0 tt1 48 r 0
v_accvgpr_read_b32 v8, acc76                       // glvw 14 mb 0 tt1 48 r 0
s_nop 1                                            // v_accvgpr read vgpr after write vgpr: 2 wait states
ds_bpermute_b32 v7, v0, v7, offset:4               // permute edge values
ds_bpermute_b32 v8, v0, v8, offset:4               // permute edge values
s_waitcnt 0                                        // wait for swizzle operation
v_accvgpr_write_b32 acc12, v5                      // 
v_accvgpr_write_b32 acc76, v6                      // 
v_accvgpr_write_b32 acc140, v7                     // 
v_accvgpr_write_b32 acc204, v8                     // 
v_accvgpr_read_b32 v5, acc156                      // glvw 14 mb 0 tt1 49 r 0
v_accvgpr_read_b32 v6, acc220                      // glvw 14 mb 0 tt1 49 r 0
v_accvgpr_read_b32 v7, acc28                       // glvw 14 mb 0 tt1 49 r 0
v_accvgpr_read_b32 v8, acc92                       // glvw 14 mb 0 tt1 49 r 0
s_nop 1                                            // v_accvgpr read vgpr after write vgpr: 2 wait states
ds_bpermute_b32 v7, v0, v7, offset:4               // permute edge values
ds_bpermute_b32 v8, v0, v8, offset:4               // permute edge values
s_waitcnt 0                                        // wait for swizzle operation
v_accvgpr_write_b32 acc28, v5                      // 
v_accvgpr_write_b32 acc92, v6                      // 
v_accvgpr_write_b32 acc156, v7                     // 
v_accvgpr_write_b32 acc220, v8                     // 
v_accvgpr_read_b32 v5, acc172                      // glvw 14 mb 0 tt1 50 r 0
v_accvgpr_read_b32 v6, acc236                      // glvw 14 mb 0 tt1 50 r 0
v_accvgpr_read_b32 v7, acc44                       // glvw 14 mb 0 tt1 50 r 0
v_accvgpr_read_b32 v8, acc108                      // glvw 14 mb 0 tt1 50 r 0
s_nop 1                                            // v_accvgpr read vgpr after write vgpr: 2 wait states
ds_bpermute_b32 v7, v0, v7, offset:4               // permute edge values
ds_bpermute_b32 v8, v0, v8, offset:4               // permute edge values
s_waitcnt 0                                        // wait for swizzle operation
v_accvgpr_write_b32 acc44, v5                      // 
v_accvgpr_write_b32 acc108, v6                     // 
v_accvgpr_write_b32 acc172, v7                     // 
v_accvgpr_write_b32 acc236, v8                     // 
v_accvgpr_read_b32 v5, acc188                      // glvw 14 mb 0 tt1 51 r 0
v_accvgpr_read_b32 v6, acc252                      // glvw 14 mb 0 tt1 51 r 0
v_accvgpr_read_b32 v7, acc60                       // glvw 14 mb 0 tt1 51 r 0
v_accvgpr_read_b32 v8, acc124                      // glvw 14 mb 0 tt1 51 r 0
s_nop 1                                            // v_accvgpr read vgpr after write vgpr: 2 wait states
ds_bpermute_b32 v7, v0, v7, offset:4               // permute edge values
ds_bpermute_b32 v8, v0, v8, offset:4               // permute edge values
s_waitcnt 0                                        // wait for swizzle operation
v_accvgpr_write_b32 acc60, v5                      // 
v_accvgpr_write_b32 acc124, v6                     // 
v_accvgpr_write_b32 acc188, v7                     // 
v_accvgpr_write_b32 acc252, v8                     // 
v_accvgpr_read_b32 v5, acc141                      // glvw 14 mb 0 tt1 52 r 0
v_accvgpr_read_b32 v6, acc205                      // glvw 14 mb 0 tt1 52 r 0
v_accvgpr_read_b32 v7, acc13                       // glvw 14 mb 0 tt1 52 r 0
v_accvgpr_read_b32 v8, acc77                       // glvw 14 mb 0 tt1 52 r 0
s_nop 1                                            // v_accvgpr read vgpr after write vgpr: 2 wait states
ds_bpermute_b32 v7, v0, v7, offset:4               // permute edge values
ds_bpermute_b32 v8, v0, v8, offset:4               // permute edge values
s_waitcnt 0                                        // wait for swizzle operation
v_accvgpr_write_b32 acc13, v5                      // 
v_accvgpr_write_b32 acc77, v6                      // 
v_accvgpr_write_b32 acc141, v7                     // 
v_accvgpr_write_b32 acc205, v8                     // 
v_accvgpr_read_b32 v5, acc157                      // glvw 14 mb 0 tt1 53 r 0
v_accvgpr_read_b32 v6, acc221                      // glvw 14 mb 0 tt1 53 r 0
v_accvgpr_read_b32 v7, acc29                       // glvw 14 mb 0 tt1 53 r 0
v_accvgpr_read_b32 v8, acc93                       // glvw 14 mb 0 tt1 53 r 0
s_nop 1                                            // v_accvgpr read vgpr after write vgpr: 2 wait states
ds_bpermute_b32 v7, v0, v7, offset:4               // permute edge values
ds_bpermute_b32 v8, v0, v8, offset:4               // permute edge values
s_waitcnt 0                                        // wait for swizzle operation
v_accvgpr_write_b32 acc29, v5                      // 
v_accvgpr_write_b32 acc93, v6                      // 
v_accvgpr_write_b32 acc157, v7                     // 
v_accvgpr_write_b32 acc221, v8                     // 
v_accvgpr_read_b32 v5, acc173                      // glvw 14 mb 0 tt1 54 r 0
v_accvgpr_read_b32 v6, acc237                      // glvw 14 mb 0 tt1 54 r 0
v_accvgpr_read_b32 v7, acc45                       // glvw 14 mb 0 tt1 54 r 0
v_accvgpr_read_b32 v8, acc109                      // glvw 14 mb 0 tt1 54 r 0
s_nop 1                                            // v_accvgpr read vgpr after write vgpr: 2 wait states
ds_bpermute_b32 v7, v0, v7, offset:4               // permute edge values
ds_bpermute_b32 v8, v0, v8, offset:4               // permute edge values
s_waitcnt 0                                        // wait for swizzle operation
v_accvgpr_write_b32 acc45, v5                      // 
v_accvgpr_write_b32 acc109, v6                     // 
v_accvgpr_write_b32 acc173, v7                     // 
v_accvgpr_write_b32 acc237, v8                     // 
v_accvgpr_read_b32 v5, acc189                      // glvw 14 mb 0 tt1 55 r 0
v_accvgpr_read_b32 v6, acc253                      // glvw 14 mb 0 tt1 55 r 0
v_accvgpr_read_b32 v7, acc61                       // glvw 14 mb 0 tt1 55 r 0
v_accvgpr_read_b32 v8, acc125                      // glvw 14 mb 0 tt1 55 r 0
s_nop 1                                            // v_accvgpr read vgpr after write vgpr: 2 wait states
ds_bpermute_b32 v7, v0, v7, offset:4               // permute edge values
ds_bpermute_b32 v8, v0, v8, offset:4               // permute edge values
s_waitcnt 0                                        // wait for swizzle operation
v_accvgpr_write_b32 acc61, v5                      // 
v_accvgpr_write_b32 acc125, v6                     // 
v_accvgpr_write_b32 acc189, v7                     // 
v_accvgpr_write_b32 acc253, v8                     // 
v_accvgpr_read_b32 v5, acc142                      // glvw 14 mb 0 tt1 56 r 0
v_accvgpr_read_b32 v6, acc206                      // glvw 14 mb 0 tt1 56 r 0
v_accvgpr_read_b32 v7, acc14                       // glvw 14 mb 0 tt1 56 r 0
v_accvgpr_read_b32 v8, acc78                       // glvw 14 mb 0 tt1 56 r 0
s_nop 1                                            // v_accvgpr read vgpr after write vgpr: 2 wait states
ds_bpermute_b32 v7, v0, v7, offset:4               // permute edge values
ds_bpermute_b32 v8, v0, v8, offset:4               // permute edge values
s_waitcnt 0                                        // wait for swizzle operation
v_accvgpr_write_b32 acc14, v5                      // 
v_accvgpr_write_b32 acc78, v6                      // 
v_accvgpr_write_b32 acc142, v7                     // 
v_accvgpr_write_b32 acc206, v8                     // 
v_accvgpr_read_b32 v5, acc158                      // glvw 14 mb 0 tt1 57 r 0
v_accvgpr_read_b32 v6, acc222                      // glvw 14 mb 0 tt1 57 r 0
v_accvgpr_read_b32 v7, acc30                       // glvw 14 mb 0 tt1 57 r 0
v_accvgpr_read_b32 v8, acc94                       // glvw 14 mb 0 tt1 57 r 0
s_nop 1                                            // v_accvgpr read vgpr after write vgpr: 2 wait states
ds_bpermute_b32 v7, v0, v7, offset:4               // permute edge values
ds_bpermute_b32 v8, v0, v8, offset:4               // permute edge values
s_waitcnt 0                                        // wait for swizzle operation
v_accvgpr_write_b32 acc30, v5                      // 
v_accvgpr_write_b32 acc94, v6                      // 
v_accvgpr_write_b32 acc158, v7                     // 
v_accvgpr_write_b32 acc222, v8                     // 
v_accvgpr_read_b32 v5, acc174                      // glvw 14 mb 0 tt1 58 r 0
v_accvgpr_read_b32 v6, acc238                      // glvw 14 mb 0 tt1 58 r 0
v_accvgpr_read_b32 v7, acc46                       // glvw 14 mb 0 tt1 58 r 0
v_accvgpr_read_b32 v8, acc110                      // glvw 14 mb 0 tt1 58 r 0
s_nop 1                                            // v_accvgpr read vgpr after write vgpr: 2 wait states
ds_bpermute_b32 v7, v0, v7, offset:4               // permute edge values
ds_bpermute_b32 v8, v0, v8, offset:4               // permute edge values
s_waitcnt 0                                        // wait for swizzle operation
v_accvgpr_write_b32 acc46, v5                      // 
v_accvgpr_write_b32 acc110, v6                     // 
v_accvgpr_write_b32 acc174, v7                     // 
v_accvgpr_write_b32 acc238, v8                     // 
v_accvgpr_read_b32 v5, acc190                      // glvw 14 mb 0 tt1 59 r 0
v_accvgpr_read_b32 v6, acc254                      // glvw 14 mb 0 tt1 59 r 0
v_accvgpr_read_b32 v7, acc62                       // glvw 14 mb 0 tt1 59 r 0
v_accvgpr_read_b32 v8, acc126                      // glvw 14 mb 0 tt1 59 r 0
s_nop 1                                            // v_accvgpr read vgpr after write vgpr: 2 wait states
ds_bpermute_b32 v7, v0, v7, offset:4               // permute edge values
ds_bpermute_b32 v8, v0, v8, offset:4               // permute edge values
s_waitcnt 0                                        // wait for swizzle operation
v_accvgpr_write_b32 acc62, v5                      // 
v_accvgpr_write_b32 acc126, v6                     // 
v_accvgpr_write_b32 acc190, v7                     // 
v_accvgpr_write_b32 acc254, v8                     // 
v_accvgpr_read_b32 v5, acc143                      // glvw 14 mb 0 tt1 60 r 0
v_accvgpr_read_b32 v6, acc207                      // glvw 14 mb 0 tt1 60 r 0
v_accvgpr_read_b32 v7, acc15                       // glvw 14 mb 0 tt1 60 r 0
v_accvgpr_read_b32 v8, acc79                       // glvw 14 mb 0 tt1 60 r 0
s_nop 1                                            // v_accvgpr read vgpr after write vgpr: 2 wait states
ds_bpermute_b32 v7, v0, v7, offset:4               // permute edge values
ds_bpermute_b32 v8, v0, v8, offset:4               // permute edge values
s_waitcnt 0                                        // wait for swizzle operation
v_accvgpr_write_b32 acc15, v5                      // 
v_accvgpr_write_b32 acc79, v6                      // 
v_accvgpr_write_b32 acc143, v7                     // 
v_accvgpr_write_b32 acc207, v8                     // 
v_accvgpr_read_b32 v5, acc159                      // glvw 14 mb 0 tt1 61 r 0
v_accvgpr_read_b32 v6, acc223                      // glvw 14 mb 0 tt1 61 r 0
v_accvgpr_read_b32 v7, acc31                       // glvw 14 mb 0 tt1 61 r 0
v_accvgpr_read_b32 v8, acc95                       // glvw 14 mb 0 tt1 61 r 0
s_nop 1                                            // v_accvgpr read vgpr after write vgpr: 2 wait states
ds_bpermute_b32 v7, v0, v7, offset:4               // permute edge values
ds_bpermute_b32 v8, v0, v8, offset:4               // permute edge values
s_waitcnt 0                                        // wait for swizzle operation
v_accvgpr_write_b32 acc31, v5                      // 
v_accvgpr_write_b32 acc95, v6                      // 
v_accvgpr_write_b32 acc159, v7                     // 
v_accvgpr_write_b32 acc223, v8                     // 
v_accvgpr_read_b32 v5, acc175                      // glvw 14 mb 0 tt1 62 r 0
v_accvgpr_read_b32 v6, acc239                      // glvw 14 mb 0 tt1 62 r 0
v_accvgpr_read_b32 v7, acc47                       // glvw 14 mb 0 tt1 62 r 0
v_accvgpr_read_b32 v8, acc111                      // glvw 14 mb 0 tt1 62 r 0
s_nop 1                                            // v_accvgpr read vgpr after write vgpr: 2 wait states
ds_bpermute_b32 v7, v0, v7, offset:4               // permute edge values
ds_bpermute_b32 v8, v0, v8, offset:4               // permute edge values
s_waitcnt 0                                        // wait for swizzle operation
v_accvgpr_write_b32 acc47, v5                      // 
v_accvgpr_write_b32 acc111, v6                     // 
v_accvgpr_write_b32 acc175, v7                     // 
v_accvgpr_write_b32 acc239, v8                     // 
v_accvgpr_read_b32 v5, acc191                      // glvw 14 mb 0 tt1 63 r 0
v_accvgpr_read_b32 v6, acc255                      // glvw 14 mb 0 tt1 63 r 0
v_accvgpr_read_b32 v7, acc63                       // glvw 14 mb 0 tt1 63 r 0
v_accvgpr_read_b32 v8, acc127                      // glvw 14 mb 0 tt1 63 r 0
s_nop 1                                            // v_accvgpr read vgpr after write vgpr: 2 wait states
ds_bpermute_b32 v7, v0, v7, offset:4               // permute edge values
ds_bpermute_b32 v8, v0, v8, offset:4               // permute edge values
s_waitcnt 0                                        // wait for swizzle operation
v_accvgpr_write_b32 acc63, v5                      // 
v_accvgpr_write_b32 acc127, v6                     // 
v_accvgpr_write_b32 acc191, v7                     // 
v_accvgpr_write_b32 acc255, v8                     // 
s_mov_b64 s[42:43], 0xFFFFFFFFFFFFFFFF             // to restore all threads active
s_or_saveexec_b64 vcc, s[42:43]                    // all threads active
s_branch label_0222                                // done shifting


/******************************************/
/* shift d1 r=15 mb=0 vw0                 */
/******************************************/
label_0221: // r15 mb0 vw0 
s_mov_b32 s42, 0                                   // 
_v_cmpx_eq_u32 s[42:43], v4, s42                   // is thread in edge glvw region
v_and_b32 v0, 63, v[vgprSerial]                    // permute register between threads
v_lshlrev_b32 v0, 2, v0                            // permute register between threads
v_accvgpr_read_b32 v5, acc64                       // glvw 15 mb 0 tt1 0 r 0
v_accvgpr_read_b32 v6, acc128                      // glvw 15 mb 0 tt1 0 r 0
v_accvgpr_read_b32 v7, acc192                      // glvw 15 mb 0 tt1 0 r 0
v_accvgpr_read_b32 v8, acc0                        // glvw 15 mb 0 tt1 0 r 0
s_nop 1                                            // v_accvgpr read vgpr after write vgpr: 2 wait states
ds_bpermute_b32 v8, v0, v8, offset:4               // permute edge values
s_waitcnt 0                                        // wait for swizzle operation
v_accvgpr_write_b32 acc0, v5                       // 
v_accvgpr_write_b32 acc64, v6                      // 
v_accvgpr_write_b32 acc128, v7                     // 
v_accvgpr_write_b32 acc192, v8                     // 
v_accvgpr_read_b32 v5, acc80                       // glvw 15 mb 0 tt1 1 r 0
v_accvgpr_read_b32 v6, acc144                      // glvw 15 mb 0 tt1 1 r 0
v_accvgpr_read_b32 v7, acc208                      // glvw 15 mb 0 tt1 1 r 0
v_accvgpr_read_b32 v8, acc16                       // glvw 15 mb 0 tt1 1 r 0
s_nop 1                                            // v_accvgpr read vgpr after write vgpr: 2 wait states
ds_bpermute_b32 v8, v0, v8, offset:4               // permute edge values
s_waitcnt 0                                        // wait for swizzle operation
v_accvgpr_write_b32 acc16, v5                      // 
v_accvgpr_write_b32 acc80, v6                      // 
v_accvgpr_write_b32 acc144, v7                     // 
v_accvgpr_write_b32 acc208, v8                     // 
v_accvgpr_read_b32 v5, acc96                       // glvw 15 mb 0 tt1 2 r 0
v_accvgpr_read_b32 v6, acc160                      // glvw 15 mb 0 tt1 2 r 0
v_accvgpr_read_b32 v7, acc224                      // glvw 15 mb 0 tt1 2 r 0
v_accvgpr_read_b32 v8, acc32                       // glvw 15 mb 0 tt1 2 r 0
s_nop 1                                            // v_accvgpr read vgpr after write vgpr: 2 wait states
ds_bpermute_b32 v8, v0, v8, offset:4               // permute edge values
s_waitcnt 0                                        // wait for swizzle operation
v_accvgpr_write_b32 acc32, v5                      // 
v_accvgpr_write_b32 acc96, v6                      // 
v_accvgpr_write_b32 acc160, v7                     // 
v_accvgpr_write_b32 acc224, v8                     // 
v_accvgpr_read_b32 v5, acc112                      // glvw 15 mb 0 tt1 3 r 0
v_accvgpr_read_b32 v6, acc176                      // glvw 15 mb 0 tt1 3 r 0
v_accvgpr_read_b32 v7, acc240                      // glvw 15 mb 0 tt1 3 r 0
v_accvgpr_read_b32 v8, acc48                       // glvw 15 mb 0 tt1 3 r 0
s_nop 1                                            // v_accvgpr read vgpr after write vgpr: 2 wait states
ds_bpermute_b32 v8, v0, v8, offset:4               // permute edge values
s_waitcnt 0                                        // wait for swizzle operation
v_accvgpr_write_b32 acc48, v5                      // 
v_accvgpr_write_b32 acc112, v6                     // 
v_accvgpr_write_b32 acc176, v7                     // 
v_accvgpr_write_b32 acc240, v8                     // 
v_accvgpr_read_b32 v5, acc65                       // glvw 15 mb 0 tt1 4 r 0
v_accvgpr_read_b32 v6, acc129                      // glvw 15 mb 0 tt1 4 r 0
v_accvgpr_read_b32 v7, acc193                      // glvw 15 mb 0 tt1 4 r 0
v_accvgpr_read_b32 v8, acc1                        // glvw 15 mb 0 tt1 4 r 0
s_nop 1                                            // v_accvgpr read vgpr after write vgpr: 2 wait states
ds_bpermute_b32 v8, v0, v8, offset:4               // permute edge values
s_waitcnt 0                                        // wait for swizzle operation
v_accvgpr_write_b32 acc1, v5                       // 
v_accvgpr_write_b32 acc65, v6                      // 
v_accvgpr_write_b32 acc129, v7                     // 
v_accvgpr_write_b32 acc193, v8                     // 
v_accvgpr_read_b32 v5, acc81                       // glvw 15 mb 0 tt1 5 r 0
v_accvgpr_read_b32 v6, acc145                      // glvw 15 mb 0 tt1 5 r 0
v_accvgpr_read_b32 v7, acc209                      // glvw 15 mb 0 tt1 5 r 0
v_accvgpr_read_b32 v8, acc17                       // glvw 15 mb 0 tt1 5 r 0
s_nop 1                                            // v_accvgpr read vgpr after write vgpr: 2 wait states
ds_bpermute_b32 v8, v0, v8, offset:4               // permute edge values
s_waitcnt 0                                        // wait for swizzle operation
v_accvgpr_write_b32 acc17, v5                      // 
v_accvgpr_write_b32 acc81, v6                      // 
v_accvgpr_write_b32 acc145, v7                     // 
v_accvgpr_write_b32 acc209, v8                     // 
v_accvgpr_read_b32 v5, acc97                       // glvw 15 mb 0 tt1 6 r 0
v_accvgpr_read_b32 v6, acc161                      // glvw 15 mb 0 tt1 6 r 0
v_accvgpr_read_b32 v7, acc225                      // glvw 15 mb 0 tt1 6 r 0
v_accvgpr_read_b32 v8, acc33                       // glvw 15 mb 0 tt1 6 r 0
s_nop 1                                            // v_accvgpr read vgpr after write vgpr: 2 wait states
ds_bpermute_b32 v8, v0, v8, offset:4               // permute edge values
s_waitcnt 0                                        // wait for swizzle operation
v_accvgpr_write_b32 acc33, v5                      // 
v_accvgpr_write_b32 acc97, v6                      // 
v_accvgpr_write_b32 acc161, v7                     // 
v_accvgpr_write_b32 acc225, v8                     // 
v_accvgpr_read_b32 v5, acc113                      // glvw 15 mb 0 tt1 7 r 0
v_accvgpr_read_b32 v6, acc177                      // glvw 15 mb 0 tt1 7 r 0
v_accvgpr_read_b32 v7, acc241                      // glvw 15 mb 0 tt1 7 r 0
v_accvgpr_read_b32 v8, acc49                       // glvw 15 mb 0 tt1 7 r 0
s_nop 1                                            // v_accvgpr read vgpr after write vgpr: 2 wait states
ds_bpermute_b32 v8, v0, v8, offset:4               // permute edge values
s_waitcnt 0                                        // wait for swizzle operation
v_accvgpr_write_b32 acc49, v5                      // 
v_accvgpr_write_b32 acc113, v6                     // 
v_accvgpr_write_b32 acc177, v7                     // 
v_accvgpr_write_b32 acc241, v8                     // 
v_accvgpr_read_b32 v5, acc66                       // glvw 15 mb 0 tt1 8 r 0
v_accvgpr_read_b32 v6, acc130                      // glvw 15 mb 0 tt1 8 r 0
v_accvgpr_read_b32 v7, acc194                      // glvw 15 mb 0 tt1 8 r 0
v_accvgpr_read_b32 v8, acc2                        // glvw 15 mb 0 tt1 8 r 0
s_nop 1                                            // v_accvgpr read vgpr after write vgpr: 2 wait states
ds_bpermute_b32 v8, v0, v8, offset:4               // permute edge values
s_waitcnt 0                                        // wait for swizzle operation
v_accvgpr_write_b32 acc2, v5                       // 
v_accvgpr_write_b32 acc66, v6                      // 
v_accvgpr_write_b32 acc130, v7                     // 
v_accvgpr_write_b32 acc194, v8                     // 
v_accvgpr_read_b32 v5, acc82                       // glvw 15 mb 0 tt1 9 r 0
v_accvgpr_read_b32 v6, acc146                      // glvw 15 mb 0 tt1 9 r 0
v_accvgpr_read_b32 v7, acc210                      // glvw 15 mb 0 tt1 9 r 0
v_accvgpr_read_b32 v8, acc18                       // glvw 15 mb 0 tt1 9 r 0
s_nop 1                                            // v_accvgpr read vgpr after write vgpr: 2 wait states
ds_bpermute_b32 v8, v0, v8, offset:4               // permute edge values
s_waitcnt 0                                        // wait for swizzle operation
v_accvgpr_write_b32 acc18, v5                      // 
v_accvgpr_write_b32 acc82, v6                      // 
v_accvgpr_write_b32 acc146, v7                     // 
v_accvgpr_write_b32 acc210, v8                     // 
v_accvgpr_read_b32 v5, acc98                       // glvw 15 mb 0 tt1 10 r 0
v_accvgpr_read_b32 v6, acc162                      // glvw 15 mb 0 tt1 10 r 0
v_accvgpr_read_b32 v7, acc226                      // glvw 15 mb 0 tt1 10 r 0
v_accvgpr_read_b32 v8, acc34                       // glvw 15 mb 0 tt1 10 r 0
s_nop 1                                            // v_accvgpr read vgpr after write vgpr: 2 wait states
ds_bpermute_b32 v8, v0, v8, offset:4               // permute edge values
s_waitcnt 0                                        // wait for swizzle operation
v_accvgpr_write_b32 acc34, v5                      // 
v_accvgpr_write_b32 acc98, v6                      // 
v_accvgpr_write_b32 acc162, v7                     // 
v_accvgpr_write_b32 acc226, v8                     // 
v_accvgpr_read_b32 v5, acc114                      // glvw 15 mb 0 tt1 11 r 0
v_accvgpr_read_b32 v6, acc178                      // glvw 15 mb 0 tt1 11 r 0
v_accvgpr_read_b32 v7, acc242                      // glvw 15 mb 0 tt1 11 r 0
v_accvgpr_read_b32 v8, acc50                       // glvw 15 mb 0 tt1 11 r 0
s_nop 1                                            // v_accvgpr read vgpr after write vgpr: 2 wait states
ds_bpermute_b32 v8, v0, v8, offset:4               // permute edge values
s_waitcnt 0                                        // wait for swizzle operation
v_accvgpr_write_b32 acc50, v5                      // 
v_accvgpr_write_b32 acc114, v6                     // 
v_accvgpr_write_b32 acc178, v7                     // 
v_accvgpr_write_b32 acc242, v8                     // 
v_accvgpr_read_b32 v5, acc67                       // glvw 15 mb 0 tt1 12 r 0
v_accvgpr_read_b32 v6, acc131                      // glvw 15 mb 0 tt1 12 r 0
v_accvgpr_read_b32 v7, acc195                      // glvw 15 mb 0 tt1 12 r 0
v_accvgpr_read_b32 v8, acc3                        // glvw 15 mb 0 tt1 12 r 0
s_nop 1                                            // v_accvgpr read vgpr after write vgpr: 2 wait states
ds_bpermute_b32 v8, v0, v8, offset:4               // permute edge values
s_waitcnt 0                                        // wait for swizzle operation
v_accvgpr_write_b32 acc3, v5                       // 
v_accvgpr_write_b32 acc67, v6                      // 
v_accvgpr_write_b32 acc131, v7                     // 
v_accvgpr_write_b32 acc195, v8                     // 
v_accvgpr_read_b32 v5, acc83                       // glvw 15 mb 0 tt1 13 r 0
v_accvgpr_read_b32 v6, acc147                      // glvw 15 mb 0 tt1 13 r 0
v_accvgpr_read_b32 v7, acc211                      // glvw 15 mb 0 tt1 13 r 0
v_accvgpr_read_b32 v8, acc19                       // glvw 15 mb 0 tt1 13 r 0
s_nop 1                                            // v_accvgpr read vgpr after write vgpr: 2 wait states
ds_bpermute_b32 v8, v0, v8, offset:4               // permute edge values
s_waitcnt 0                                        // wait for swizzle operation
v_accvgpr_write_b32 acc19, v5                      // 
v_accvgpr_write_b32 acc83, v6                      // 
v_accvgpr_write_b32 acc147, v7                     // 
v_accvgpr_write_b32 acc211, v8                     // 
v_accvgpr_read_b32 v5, acc99                       // glvw 15 mb 0 tt1 14 r 0
v_accvgpr_read_b32 v6, acc163                      // glvw 15 mb 0 tt1 14 r 0
v_accvgpr_read_b32 v7, acc227                      // glvw 15 mb 0 tt1 14 r 0
v_accvgpr_read_b32 v8, acc35                       // glvw 15 mb 0 tt1 14 r 0
s_nop 1                                            // v_accvgpr read vgpr after write vgpr: 2 wait states
ds_bpermute_b32 v8, v0, v8, offset:4               // permute edge values
s_waitcnt 0                                        // wait for swizzle operation
v_accvgpr_write_b32 acc35, v5                      // 
v_accvgpr_write_b32 acc99, v6                      // 
v_accvgpr_write_b32 acc163, v7                     // 
v_accvgpr_write_b32 acc227, v8                     // 
v_accvgpr_read_b32 v5, acc115                      // glvw 15 mb 0 tt1 15 r 0
v_accvgpr_read_b32 v6, acc179                      // glvw 15 mb 0 tt1 15 r 0
v_accvgpr_read_b32 v7, acc243                      // glvw 15 mb 0 tt1 15 r 0
v_accvgpr_read_b32 v8, acc51                       // glvw 15 mb 0 tt1 15 r 0
s_nop 1                                            // v_accvgpr read vgpr after write vgpr: 2 wait states
ds_bpermute_b32 v8, v0, v8, offset:4               // permute edge values
s_waitcnt 0                                        // wait for swizzle operation
v_accvgpr_write_b32 acc51, v5                      // 
v_accvgpr_write_b32 acc115, v6                     // 
v_accvgpr_write_b32 acc179, v7                     // 
v_accvgpr_write_b32 acc243, v8                     // 
v_accvgpr_read_b32 v5, acc68                       // glvw 15 mb 0 tt1 16 r 0
v_accvgpr_read_b32 v6, acc132                      // glvw 15 mb 0 tt1 16 r 0
v_accvgpr_read_b32 v7, acc196                      // glvw 15 mb 0 tt1 16 r 0
v_accvgpr_read_b32 v8, acc4                        // glvw 15 mb 0 tt1 16 r 0
s_nop 1                                            // v_accvgpr read vgpr after write vgpr: 2 wait states
ds_bpermute_b32 v8, v0, v8, offset:4               // permute edge values
s_waitcnt 0                                        // wait for swizzle operation
v_accvgpr_write_b32 acc4, v5                       // 
v_accvgpr_write_b32 acc68, v6                      // 
v_accvgpr_write_b32 acc132, v7                     // 
v_accvgpr_write_b32 acc196, v8                     // 
v_accvgpr_read_b32 v5, acc84                       // glvw 15 mb 0 tt1 17 r 0
v_accvgpr_read_b32 v6, acc148                      // glvw 15 mb 0 tt1 17 r 0
v_accvgpr_read_b32 v7, acc212                      // glvw 15 mb 0 tt1 17 r 0
v_accvgpr_read_b32 v8, acc20                       // glvw 15 mb 0 tt1 17 r 0
s_nop 1                                            // v_accvgpr read vgpr after write vgpr: 2 wait states
ds_bpermute_b32 v8, v0, v8, offset:4               // permute edge values
s_waitcnt 0                                        // wait for swizzle operation
v_accvgpr_write_b32 acc20, v5                      // 
v_accvgpr_write_b32 acc84, v6                      // 
v_accvgpr_write_b32 acc148, v7                     // 
v_accvgpr_write_b32 acc212, v8                     // 
v_accvgpr_read_b32 v5, acc100                      // glvw 15 mb 0 tt1 18 r 0
v_accvgpr_read_b32 v6, acc164                      // glvw 15 mb 0 tt1 18 r 0
v_accvgpr_read_b32 v7, acc228                      // glvw 15 mb 0 tt1 18 r 0
v_accvgpr_read_b32 v8, acc36                       // glvw 15 mb 0 tt1 18 r 0
s_nop 1                                            // v_accvgpr read vgpr after write vgpr: 2 wait states
ds_bpermute_b32 v8, v0, v8, offset:4               // permute edge values
s_waitcnt 0                                        // wait for swizzle operation
v_accvgpr_write_b32 acc36, v5                      // 
v_accvgpr_write_b32 acc100, v6                     // 
v_accvgpr_write_b32 acc164, v7                     // 
v_accvgpr_write_b32 acc228, v8                     // 
v_accvgpr_read_b32 v5, acc116                      // glvw 15 mb 0 tt1 19 r 0
v_accvgpr_read_b32 v6, acc180                      // glvw 15 mb 0 tt1 19 r 0
v_accvgpr_read_b32 v7, acc244                      // glvw 15 mb 0 tt1 19 r 0
v_accvgpr_read_b32 v8, acc52                       // glvw 15 mb 0 tt1 19 r 0
s_nop 1                                            // v_accvgpr read vgpr after write vgpr: 2 wait states
ds_bpermute_b32 v8, v0, v8, offset:4               // permute edge values
s_waitcnt 0                                        // wait for swizzle operation
v_accvgpr_write_b32 acc52, v5                      // 
v_accvgpr_write_b32 acc116, v6                     // 
v_accvgpr_write_b32 acc180, v7                     // 
v_accvgpr_write_b32 acc244, v8                     // 
v_accvgpr_read_b32 v5, acc69                       // glvw 15 mb 0 tt1 20 r 0
v_accvgpr_read_b32 v6, acc133                      // glvw 15 mb 0 tt1 20 r 0
v_accvgpr_read_b32 v7, acc197                      // glvw 15 mb 0 tt1 20 r 0
v_accvgpr_read_b32 v8, acc5                        // glvw 15 mb 0 tt1 20 r 0
s_nop 1                                            // v_accvgpr read vgpr after write vgpr: 2 wait states
ds_bpermute_b32 v8, v0, v8, offset:4               // permute edge values
s_waitcnt 0                                        // wait for swizzle operation
v_accvgpr_write_b32 acc5, v5                       // 
v_accvgpr_write_b32 acc69, v6                      // 
v_accvgpr_write_b32 acc133, v7                     // 
v_accvgpr_write_b32 acc197, v8                     // 
v_accvgpr_read_b32 v5, acc85                       // glvw 15 mb 0 tt1 21 r 0
v_accvgpr_read_b32 v6, acc149                      // glvw 15 mb 0 tt1 21 r 0
v_accvgpr_read_b32 v7, acc213                      // glvw 15 mb 0 tt1 21 r 0
v_accvgpr_read_b32 v8, acc21                       // glvw 15 mb 0 tt1 21 r 0
s_nop 1                                            // v_accvgpr read vgpr after write vgpr: 2 wait states
ds_bpermute_b32 v8, v0, v8, offset:4               // permute edge values
s_waitcnt 0                                        // wait for swizzle operation
v_accvgpr_write_b32 acc21, v5                      // 
v_accvgpr_write_b32 acc85, v6                      // 
v_accvgpr_write_b32 acc149, v7                     // 
v_accvgpr_write_b32 acc213, v8                     // 
v_accvgpr_read_b32 v5, acc101                      // glvw 15 mb 0 tt1 22 r 0
v_accvgpr_read_b32 v6, acc165                      // glvw 15 mb 0 tt1 22 r 0
v_accvgpr_read_b32 v7, acc229                      // glvw 15 mb 0 tt1 22 r 0
v_accvgpr_read_b32 v8, acc37                       // glvw 15 mb 0 tt1 22 r 0
s_nop 1                                            // v_accvgpr read vgpr after write vgpr: 2 wait states
ds_bpermute_b32 v8, v0, v8, offset:4               // permute edge values
s_waitcnt 0                                        // wait for swizzle operation
v_accvgpr_write_b32 acc37, v5                      // 
v_accvgpr_write_b32 acc101, v6                     // 
v_accvgpr_write_b32 acc165, v7                     // 
v_accvgpr_write_b32 acc229, v8                     // 
v_accvgpr_read_b32 v5, acc117                      // glvw 15 mb 0 tt1 23 r 0
v_accvgpr_read_b32 v6, acc181                      // glvw 15 mb 0 tt1 23 r 0
v_accvgpr_read_b32 v7, acc245                      // glvw 15 mb 0 tt1 23 r 0
v_accvgpr_read_b32 v8, acc53                       // glvw 15 mb 0 tt1 23 r 0
s_nop 1                                            // v_accvgpr read vgpr after write vgpr: 2 wait states
ds_bpermute_b32 v8, v0, v8, offset:4               // permute edge values
s_waitcnt 0                                        // wait for swizzle operation
v_accvgpr_write_b32 acc53, v5                      // 
v_accvgpr_write_b32 acc117, v6                     // 
v_accvgpr_write_b32 acc181, v7                     // 
v_accvgpr_write_b32 acc245, v8                     // 
v_accvgpr_read_b32 v5, acc70                       // glvw 15 mb 0 tt1 24 r 0
v_accvgpr_read_b32 v6, acc134                      // glvw 15 mb 0 tt1 24 r 0
v_accvgpr_read_b32 v7, acc198                      // glvw 15 mb 0 tt1 24 r 0
v_accvgpr_read_b32 v8, acc6                        // glvw 15 mb 0 tt1 24 r 0
s_nop 1                                            // v_accvgpr read vgpr after write vgpr: 2 wait states
ds_bpermute_b32 v8, v0, v8, offset:4               // permute edge values
s_waitcnt 0                                        // wait for swizzle operation
v_accvgpr_write_b32 acc6, v5                       // 
v_accvgpr_write_b32 acc70, v6                      // 
v_accvgpr_write_b32 acc134, v7                     // 
v_accvgpr_write_b32 acc198, v8                     // 
v_accvgpr_read_b32 v5, acc86                       // glvw 15 mb 0 tt1 25 r 0
v_accvgpr_read_b32 v6, acc150                      // glvw 15 mb 0 tt1 25 r 0
v_accvgpr_read_b32 v7, acc214                      // glvw 15 mb 0 tt1 25 r 0
v_accvgpr_read_b32 v8, acc22                       // glvw 15 mb 0 tt1 25 r 0
s_nop 1                                            // v_accvgpr read vgpr after write vgpr: 2 wait states
ds_bpermute_b32 v8, v0, v8, offset:4               // permute edge values
s_waitcnt 0                                        // wait for swizzle operation
v_accvgpr_write_b32 acc22, v5                      // 
v_accvgpr_write_b32 acc86, v6                      // 
v_accvgpr_write_b32 acc150, v7                     // 
v_accvgpr_write_b32 acc214, v8                     // 
v_accvgpr_read_b32 v5, acc102                      // glvw 15 mb 0 tt1 26 r 0
v_accvgpr_read_b32 v6, acc166                      // glvw 15 mb 0 tt1 26 r 0
v_accvgpr_read_b32 v7, acc230                      // glvw 15 mb 0 tt1 26 r 0
v_accvgpr_read_b32 v8, acc38                       // glvw 15 mb 0 tt1 26 r 0
s_nop 1                                            // v_accvgpr read vgpr after write vgpr: 2 wait states
ds_bpermute_b32 v8, v0, v8, offset:4               // permute edge values
s_waitcnt 0                                        // wait for swizzle operation
v_accvgpr_write_b32 acc38, v5                      // 
v_accvgpr_write_b32 acc102, v6                     // 
v_accvgpr_write_b32 acc166, v7                     // 
v_accvgpr_write_b32 acc230, v8                     // 
v_accvgpr_read_b32 v5, acc118                      // glvw 15 mb 0 tt1 27 r 0
v_accvgpr_read_b32 v6, acc182                      // glvw 15 mb 0 tt1 27 r 0
v_accvgpr_read_b32 v7, acc246                      // glvw 15 mb 0 tt1 27 r 0
v_accvgpr_read_b32 v8, acc54                       // glvw 15 mb 0 tt1 27 r 0
s_nop 1                                            // v_accvgpr read vgpr after write vgpr: 2 wait states
ds_bpermute_b32 v8, v0, v8, offset:4               // permute edge values
s_waitcnt 0                                        // wait for swizzle operation
v_accvgpr_write_b32 acc54, v5                      // 
v_accvgpr_write_b32 acc118, v6                     // 
v_accvgpr_write_b32 acc182, v7                     // 
v_accvgpr_write_b32 acc246, v8                     // 
v_accvgpr_read_b32 v5, acc71                       // glvw 15 mb 0 tt1 28 r 0
v_accvgpr_read_b32 v6, acc135                      // glvw 15 mb 0 tt1 28 r 0
v_accvgpr_read_b32 v7, acc199                      // glvw 15 mb 0 tt1 28 r 0
v_accvgpr_read_b32 v8, acc7                        // glvw 15 mb 0 tt1 28 r 0
s_nop 1                                            // v_accvgpr read vgpr after write vgpr: 2 wait states
ds_bpermute_b32 v8, v0, v8, offset:4               // permute edge values
s_waitcnt 0                                        // wait for swizzle operation
v_accvgpr_write_b32 acc7, v5                       // 
v_accvgpr_write_b32 acc71, v6                      // 
v_accvgpr_write_b32 acc135, v7                     // 
v_accvgpr_write_b32 acc199, v8                     // 
v_accvgpr_read_b32 v5, acc87                       // glvw 15 mb 0 tt1 29 r 0
v_accvgpr_read_b32 v6, acc151                      // glvw 15 mb 0 tt1 29 r 0
v_accvgpr_read_b32 v7, acc215                      // glvw 15 mb 0 tt1 29 r 0
v_accvgpr_read_b32 v8, acc23                       // glvw 15 mb 0 tt1 29 r 0
s_nop 1                                            // v_accvgpr read vgpr after write vgpr: 2 wait states
ds_bpermute_b32 v8, v0, v8, offset:4               // permute edge values
s_waitcnt 0                                        // wait for swizzle operation
v_accvgpr_write_b32 acc23, v5                      // 
v_accvgpr_write_b32 acc87, v6                      // 
v_accvgpr_write_b32 acc151, v7                     // 
v_accvgpr_write_b32 acc215, v8                     // 
v_accvgpr_read_b32 v5, acc103                      // glvw 15 mb 0 tt1 30 r 0
v_accvgpr_read_b32 v6, acc167                      // glvw 15 mb 0 tt1 30 r 0
v_accvgpr_read_b32 v7, acc231                      // glvw 15 mb 0 tt1 30 r 0
v_accvgpr_read_b32 v8, acc39                       // glvw 15 mb 0 tt1 30 r 0
s_nop 1                                            // v_accvgpr read vgpr after write vgpr: 2 wait states
ds_bpermute_b32 v8, v0, v8, offset:4               // permute edge values
s_waitcnt 0                                        // wait for swizzle operation
v_accvgpr_write_b32 acc39, v5                      // 
v_accvgpr_write_b32 acc103, v6                     // 
v_accvgpr_write_b32 acc167, v7                     // 
v_accvgpr_write_b32 acc231, v8                     // 
v_accvgpr_read_b32 v5, acc119                      // glvw 15 mb 0 tt1 31 r 0
v_accvgpr_read_b32 v6, acc183                      // glvw 15 mb 0 tt1 31 r 0
v_accvgpr_read_b32 v7, acc247                      // glvw 15 mb 0 tt1 31 r 0
v_accvgpr_read_b32 v8, acc55                       // glvw 15 mb 0 tt1 31 r 0
s_nop 1                                            // v_accvgpr read vgpr after write vgpr: 2 wait states
ds_bpermute_b32 v8, v0, v8, offset:4               // permute edge values
s_waitcnt 0                                        // wait for swizzle operation
v_accvgpr_write_b32 acc55, v5                      // 
v_accvgpr_write_b32 acc119, v6                     // 
v_accvgpr_write_b32 acc183, v7                     // 
v_accvgpr_write_b32 acc247, v8                     // 
v_accvgpr_read_b32 v5, acc72                       // glvw 15 mb 0 tt1 32 r 0
v_accvgpr_read_b32 v6, acc136                      // glvw 15 mb 0 tt1 32 r 0
v_accvgpr_read_b32 v7, acc200                      // glvw 15 mb 0 tt1 32 r 0
v_accvgpr_read_b32 v8, acc8                        // glvw 15 mb 0 tt1 32 r 0
s_nop 1                                            // v_accvgpr read vgpr after write vgpr: 2 wait states
ds_bpermute_b32 v8, v0, v8, offset:4               // permute edge values
s_waitcnt 0                                        // wait for swizzle operation
v_accvgpr_write_b32 acc8, v5                       // 
v_accvgpr_write_b32 acc72, v6                      // 
v_accvgpr_write_b32 acc136, v7                     // 
v_accvgpr_write_b32 acc200, v8                     // 
v_accvgpr_read_b32 v5, acc88                       // glvw 15 mb 0 tt1 33 r 0
v_accvgpr_read_b32 v6, acc152                      // glvw 15 mb 0 tt1 33 r 0
v_accvgpr_read_b32 v7, acc216                      // glvw 15 mb 0 tt1 33 r 0
v_accvgpr_read_b32 v8, acc24                       // glvw 15 mb 0 tt1 33 r 0
s_nop 1                                            // v_accvgpr read vgpr after write vgpr: 2 wait states
ds_bpermute_b32 v8, v0, v8, offset:4               // permute edge values
s_waitcnt 0                                        // wait for swizzle operation
v_accvgpr_write_b32 acc24, v5                      // 
v_accvgpr_write_b32 acc88, v6                      // 
v_accvgpr_write_b32 acc152, v7                     // 
v_accvgpr_write_b32 acc216, v8                     // 
v_accvgpr_read_b32 v5, acc104                      // glvw 15 mb 0 tt1 34 r 0
v_accvgpr_read_b32 v6, acc168                      // glvw 15 mb 0 tt1 34 r 0
v_accvgpr_read_b32 v7, acc232                      // glvw 15 mb 0 tt1 34 r 0
v_accvgpr_read_b32 v8, acc40                       // glvw 15 mb 0 tt1 34 r 0
s_nop 1                                            // v_accvgpr read vgpr after write vgpr: 2 wait states
ds_bpermute_b32 v8, v0, v8, offset:4               // permute edge values
s_waitcnt 0                                        // wait for swizzle operation
v_accvgpr_write_b32 acc40, v5                      // 
v_accvgpr_write_b32 acc104, v6                     // 
v_accvgpr_write_b32 acc168, v7                     // 
v_accvgpr_write_b32 acc232, v8                     // 
v_accvgpr_read_b32 v5, acc120                      // glvw 15 mb 0 tt1 35 r 0
v_accvgpr_read_b32 v6, acc184                      // glvw 15 mb 0 tt1 35 r 0
v_accvgpr_read_b32 v7, acc248                      // glvw 15 mb 0 tt1 35 r 0
v_accvgpr_read_b32 v8, acc56                       // glvw 15 mb 0 tt1 35 r 0
s_nop 1                                            // v_accvgpr read vgpr after write vgpr: 2 wait states
ds_bpermute_b32 v8, v0, v8, offset:4               // permute edge values
s_waitcnt 0                                        // wait for swizzle operation
v_accvgpr_write_b32 acc56, v5                      // 
v_accvgpr_write_b32 acc120, v6                     // 
v_accvgpr_write_b32 acc184, v7                     // 
v_accvgpr_write_b32 acc248, v8                     // 
v_accvgpr_read_b32 v5, acc73                       // glvw 15 mb 0 tt1 36 r 0
v_accvgpr_read_b32 v6, acc137                      // glvw 15 mb 0 tt1 36 r 0
v_accvgpr_read_b32 v7, acc201                      // glvw 15 mb 0 tt1 36 r 0
v_accvgpr_read_b32 v8, acc9                        // glvw 15 mb 0 tt1 36 r 0
s_nop 1                                            // v_accvgpr read vgpr after write vgpr: 2 wait states
ds_bpermute_b32 v8, v0, v8, offset:4               // permute edge values
s_waitcnt 0                                        // wait for swizzle operation
v_accvgpr_write_b32 acc9, v5                       // 
v_accvgpr_write_b32 acc73, v6                      // 
v_accvgpr_write_b32 acc137, v7                     // 
v_accvgpr_write_b32 acc201, v8                     // 
v_accvgpr_read_b32 v5, acc89                       // glvw 15 mb 0 tt1 37 r 0
v_accvgpr_read_b32 v6, acc153                      // glvw 15 mb 0 tt1 37 r 0
v_accvgpr_read_b32 v7, acc217                      // glvw 15 mb 0 tt1 37 r 0
v_accvgpr_read_b32 v8, acc25                       // glvw 15 mb 0 tt1 37 r 0
s_nop 1                                            // v_accvgpr read vgpr after write vgpr: 2 wait states
ds_bpermute_b32 v8, v0, v8, offset:4               // permute edge values
s_waitcnt 0                                        // wait for swizzle operation
v_accvgpr_write_b32 acc25, v5                      // 
v_accvgpr_write_b32 acc89, v6                      // 
v_accvgpr_write_b32 acc153, v7                     // 
v_accvgpr_write_b32 acc217, v8                     // 
v_accvgpr_read_b32 v5, acc105                      // glvw 15 mb 0 tt1 38 r 0
v_accvgpr_read_b32 v6, acc169                      // glvw 15 mb 0 tt1 38 r 0
v_accvgpr_read_b32 v7, acc233                      // glvw 15 mb 0 tt1 38 r 0
v_accvgpr_read_b32 v8, acc41                       // glvw 15 mb 0 tt1 38 r 0
s_nop 1                                            // v_accvgpr read vgpr after write vgpr: 2 wait states
ds_bpermute_b32 v8, v0, v8, offset:4               // permute edge values
s_waitcnt 0                                        // wait for swizzle operation
v_accvgpr_write_b32 acc41, v5                      // 
v_accvgpr_write_b32 acc105, v6                     // 
v_accvgpr_write_b32 acc169, v7                     // 
v_accvgpr_write_b32 acc233, v8                     // 
v_accvgpr_read_b32 v5, acc121                      // glvw 15 mb 0 tt1 39 r 0
v_accvgpr_read_b32 v6, acc185                      // glvw 15 mb 0 tt1 39 r 0
v_accvgpr_read_b32 v7, acc249                      // glvw 15 mb 0 tt1 39 r 0
v_accvgpr_read_b32 v8, acc57                       // glvw 15 mb 0 tt1 39 r 0
s_nop 1                                            // v_accvgpr read vgpr after write vgpr: 2 wait states
ds_bpermute_b32 v8, v0, v8, offset:4               // permute edge values
s_waitcnt 0                                        // wait for swizzle operation
v_accvgpr_write_b32 acc57, v5                      // 
v_accvgpr_write_b32 acc121, v6                     // 
v_accvgpr_write_b32 acc185, v7                     // 
v_accvgpr_write_b32 acc249, v8                     // 
v_accvgpr_read_b32 v5, acc74                       // glvw 15 mb 0 tt1 40 r 0
v_accvgpr_read_b32 v6, acc138                      // glvw 15 mb 0 tt1 40 r 0
v_accvgpr_read_b32 v7, acc202                      // glvw 15 mb 0 tt1 40 r 0
v_accvgpr_read_b32 v8, acc10                       // glvw 15 mb 0 tt1 40 r 0
s_nop 1                                            // v_accvgpr read vgpr after write vgpr: 2 wait states
ds_bpermute_b32 v8, v0, v8, offset:4               // permute edge values
s_waitcnt 0                                        // wait for swizzle operation
v_accvgpr_write_b32 acc10, v5                      // 
v_accvgpr_write_b32 acc74, v6                      // 
v_accvgpr_write_b32 acc138, v7                     // 
v_accvgpr_write_b32 acc202, v8                     // 
v_accvgpr_read_b32 v5, acc90                       // glvw 15 mb 0 tt1 41 r 0
v_accvgpr_read_b32 v6, acc154                      // glvw 15 mb 0 tt1 41 r 0
v_accvgpr_read_b32 v7, acc218                      // glvw 15 mb 0 tt1 41 r 0
v_accvgpr_read_b32 v8, acc26                       // glvw 15 mb 0 tt1 41 r 0
s_nop 1                                            // v_accvgpr read vgpr after write vgpr: 2 wait states
ds_bpermute_b32 v8, v0, v8, offset:4               // permute edge values
s_waitcnt 0                                        // wait for swizzle operation
v_accvgpr_write_b32 acc26, v5                      // 
v_accvgpr_write_b32 acc90, v6                      // 
v_accvgpr_write_b32 acc154, v7                     // 
v_accvgpr_write_b32 acc218, v8                     // 
v_accvgpr_read_b32 v5, acc106                      // glvw 15 mb 0 tt1 42 r 0
v_accvgpr_read_b32 v6, acc170                      // glvw 15 mb 0 tt1 42 r 0
v_accvgpr_read_b32 v7, acc234                      // glvw 15 mb 0 tt1 42 r 0
v_accvgpr_read_b32 v8, acc42                       // glvw 15 mb 0 tt1 42 r 0
s_nop 1                                            // v_accvgpr read vgpr after write vgpr: 2 wait states
ds_bpermute_b32 v8, v0, v8, offset:4               // permute edge values
s_waitcnt 0                                        // wait for swizzle operation
v_accvgpr_write_b32 acc42, v5                      // 
v_accvgpr_write_b32 acc106, v6                     // 
v_accvgpr_write_b32 acc170, v7                     // 
v_accvgpr_write_b32 acc234, v8                     // 
v_accvgpr_read_b32 v5, acc122                      // glvw 15 mb 0 tt1 43 r 0
v_accvgpr_read_b32 v6, acc186                      // glvw 15 mb 0 tt1 43 r 0
v_accvgpr_read_b32 v7, acc250                      // glvw 15 mb 0 tt1 43 r 0
v_accvgpr_read_b32 v8, acc58                       // glvw 15 mb 0 tt1 43 r 0
s_nop 1                                            // v_accvgpr read vgpr after write vgpr: 2 wait states
ds_bpermute_b32 v8, v0, v8, offset:4               // permute edge values
s_waitcnt 0                                        // wait for swizzle operation
v_accvgpr_write_b32 acc58, v5                      // 
v_accvgpr_write_b32 acc122, v6                     // 
v_accvgpr_write_b32 acc186, v7                     // 
v_accvgpr_write_b32 acc250, v8                     // 
v_accvgpr_read_b32 v5, acc75                       // glvw 15 mb 0 tt1 44 r 0
v_accvgpr_read_b32 v6, acc139                      // glvw 15 mb 0 tt1 44 r 0
v_accvgpr_read_b32 v7, acc203                      // glvw 15 mb 0 tt1 44 r 0
v_accvgpr_read_b32 v8, acc11                       // glvw 15 mb 0 tt1 44 r 0
s_nop 1                                            // v_accvgpr read vgpr after write vgpr: 2 wait states
ds_bpermute_b32 v8, v0, v8, offset:4               // permute edge values
s_waitcnt 0                                        // wait for swizzle operation
v_accvgpr_write_b32 acc11, v5                      // 
v_accvgpr_write_b32 acc75, v6                      // 
v_accvgpr_write_b32 acc139, v7                     // 
v_accvgpr_write_b32 acc203, v8                     // 
v_accvgpr_read_b32 v5, acc91                       // glvw 15 mb 0 tt1 45 r 0
v_accvgpr_read_b32 v6, acc155                      // glvw 15 mb 0 tt1 45 r 0
v_accvgpr_read_b32 v7, acc219                      // glvw 15 mb 0 tt1 45 r 0
v_accvgpr_read_b32 v8, acc27                       // glvw 15 mb 0 tt1 45 r 0
s_nop 1                                            // v_accvgpr read vgpr after write vgpr: 2 wait states
ds_bpermute_b32 v8, v0, v8, offset:4               // permute edge values
s_waitcnt 0                                        // wait for swizzle operation
v_accvgpr_write_b32 acc27, v5                      // 
v_accvgpr_write_b32 acc91, v6                      // 
v_accvgpr_write_b32 acc155, v7                     // 
v_accvgpr_write_b32 acc219, v8                     // 
v_accvgpr_read_b32 v5, acc107                      // glvw 15 mb 0 tt1 46 r 0
v_accvgpr_read_b32 v6, acc171                      // glvw 15 mb 0 tt1 46 r 0
v_accvgpr_read_b32 v7, acc235                      // glvw 15 mb 0 tt1 46 r 0
v_accvgpr_read_b32 v8, acc43                       // glvw 15 mb 0 tt1 46 r 0
s_nop 1                                            // v_accvgpr read vgpr after write vgpr: 2 wait states
ds_bpermute_b32 v8, v0, v8, offset:4               // permute edge values
s_waitcnt 0                                        // wait for swizzle operation
v_accvgpr_write_b32 acc43, v5                      // 
v_accvgpr_write_b32 acc107, v6                     // 
v_accvgpr_write_b32 acc171, v7                     // 
v_accvgpr_write_b32 acc235, v8                     // 
v_accvgpr_read_b32 v5, acc123                      // glvw 15 mb 0 tt1 47 r 0
v_accvgpr_read_b32 v6, acc187                      // glvw 15 mb 0 tt1 47 r 0
v_accvgpr_read_b32 v7, acc251                      // glvw 15 mb 0 tt1 47 r 0
v_accvgpr_read_b32 v8, acc59                       // glvw 15 mb 0 tt1 47 r 0
s_nop 1                                            // v_accvgpr read vgpr after write vgpr: 2 wait states
ds_bpermute_b32 v8, v0, v8, offset:4               // permute edge values
s_waitcnt 0                                        // wait for swizzle operation
v_accvgpr_write_b32 acc59, v5                      // 
v_accvgpr_write_b32 acc123, v6                     // 
v_accvgpr_write_b32 acc187, v7                     // 
v_accvgpr_write_b32 acc251, v8                     // 
v_accvgpr_read_b32 v5, acc76                       // glvw 15 mb 0 tt1 48 r 0
v_accvgpr_read_b32 v6, acc140                      // glvw 15 mb 0 tt1 48 r 0
v_accvgpr_read_b32 v7, acc204                      // glvw 15 mb 0 tt1 48 r 0
v_accvgpr_read_b32 v8, acc12                       // glvw 15 mb 0 tt1 48 r 0
s_nop 1                                            // v_accvgpr read vgpr after write vgpr: 2 wait states
ds_bpermute_b32 v8, v0, v8, offset:4               // permute edge values
s_waitcnt 0                                        // wait for swizzle operation
v_accvgpr_write_b32 acc12, v5                      // 
v_accvgpr_write_b32 acc76, v6                      // 
v_accvgpr_write_b32 acc140, v7                     // 
v_accvgpr_write_b32 acc204, v8                     // 
v_accvgpr_read_b32 v5, acc92                       // glvw 15 mb 0 tt1 49 r 0
v_accvgpr_read_b32 v6, acc156                      // glvw 15 mb 0 tt1 49 r 0
v_accvgpr_read_b32 v7, acc220                      // glvw 15 mb 0 tt1 49 r 0
v_accvgpr_read_b32 v8, acc28                       // glvw 15 mb 0 tt1 49 r 0
s_nop 1                                            // v_accvgpr read vgpr after write vgpr: 2 wait states
ds_bpermute_b32 v8, v0, v8, offset:4               // permute edge values
s_waitcnt 0                                        // wait for swizzle operation
v_accvgpr_write_b32 acc28, v5                      // 
v_accvgpr_write_b32 acc92, v6                      // 
v_accvgpr_write_b32 acc156, v7                     // 
v_accvgpr_write_b32 acc220, v8                     // 
v_accvgpr_read_b32 v5, acc108                      // glvw 15 mb 0 tt1 50 r 0
v_accvgpr_read_b32 v6, acc172                      // glvw 15 mb 0 tt1 50 r 0
v_accvgpr_read_b32 v7, acc236                      // glvw 15 mb 0 tt1 50 r 0
v_accvgpr_read_b32 v8, acc44                       // glvw 15 mb 0 tt1 50 r 0
s_nop 1                                            // v_accvgpr read vgpr after write vgpr: 2 wait states
ds_bpermute_b32 v8, v0, v8, offset:4               // permute edge values
s_waitcnt 0                                        // wait for swizzle operation
v_accvgpr_write_b32 acc44, v5                      // 
v_accvgpr_write_b32 acc108, v6                     // 
v_accvgpr_write_b32 acc172, v7                     // 
v_accvgpr_write_b32 acc236, v8                     // 
v_accvgpr_read_b32 v5, acc124                      // glvw 15 mb 0 tt1 51 r 0
v_accvgpr_read_b32 v6, acc188                      // glvw 15 mb 0 tt1 51 r 0
v_accvgpr_read_b32 v7, acc252                      // glvw 15 mb 0 tt1 51 r 0
v_accvgpr_read_b32 v8, acc60                       // glvw 15 mb 0 tt1 51 r 0
s_nop 1                                            // v_accvgpr read vgpr after write vgpr: 2 wait states
ds_bpermute_b32 v8, v0, v8, offset:4               // permute edge values
s_waitcnt 0                                        // wait for swizzle operation
v_accvgpr_write_b32 acc60, v5                      // 
v_accvgpr_write_b32 acc124, v6                     // 
v_accvgpr_write_b32 acc188, v7                     // 
v_accvgpr_write_b32 acc252, v8                     // 
v_accvgpr_read_b32 v5, acc77                       // glvw 15 mb 0 tt1 52 r 0
v_accvgpr_read_b32 v6, acc141                      // glvw 15 mb 0 tt1 52 r 0
v_accvgpr_read_b32 v7, acc205                      // glvw 15 mb 0 tt1 52 r 0
v_accvgpr_read_b32 v8, acc13                       // glvw 15 mb 0 tt1 52 r 0
s_nop 1                                            // v_accvgpr read vgpr after write vgpr: 2 wait states
ds_bpermute_b32 v8, v0, v8, offset:4               // permute edge values
s_waitcnt 0                                        // wait for swizzle operation
v_accvgpr_write_b32 acc13, v5                      // 
v_accvgpr_write_b32 acc77, v6                      // 
v_accvgpr_write_b32 acc141, v7                     // 
v_accvgpr_write_b32 acc205, v8                     // 
v_accvgpr_read_b32 v5, acc93                       // glvw 15 mb 0 tt1 53 r 0
v_accvgpr_read_b32 v6, acc157                      // glvw 15 mb 0 tt1 53 r 0
v_accvgpr_read_b32 v7, acc221                      // glvw 15 mb 0 tt1 53 r 0
v_accvgpr_read_b32 v8, acc29                       // glvw 15 mb 0 tt1 53 r 0
s_nop 1                                            // v_accvgpr read vgpr after write vgpr: 2 wait states
ds_bpermute_b32 v8, v0, v8, offset:4               // permute edge values
s_waitcnt 0                                        // wait for swizzle operation
v_accvgpr_write_b32 acc29, v5                      // 
v_accvgpr_write_b32 acc93, v6                      // 
v_accvgpr_write_b32 acc157, v7                     // 
v_accvgpr_write_b32 acc221, v8                     // 
v_accvgpr_read_b32 v5, acc109                      // glvw 15 mb 0 tt1 54 r 0
v_accvgpr_read_b32 v6, acc173                      // glvw 15 mb 0 tt1 54 r 0
v_accvgpr_read_b32 v7, acc237                      // glvw 15 mb 0 tt1 54 r 0
v_accvgpr_read_b32 v8, acc45                       // glvw 15 mb 0 tt1 54 r 0
s_nop 1                                            // v_accvgpr read vgpr after write vgpr: 2 wait states
ds_bpermute_b32 v8, v0, v8, offset:4               // permute edge values
s_waitcnt 0                                        // wait for swizzle operation
v_accvgpr_write_b32 acc45, v5                      // 
v_accvgpr_write_b32 acc109, v6                     // 
v_accvgpr_write_b32 acc173, v7                     // 
v_accvgpr_write_b32 acc237, v8                     // 
v_accvgpr_read_b32 v5, acc125                      // glvw 15 mb 0 tt1 55 r 0
v_accvgpr_read_b32 v6, acc189                      // glvw 15 mb 0 tt1 55 r 0
v_accvgpr_read_b32 v7, acc253                      // glvw 15 mb 0 tt1 55 r 0
v_accvgpr_read_b32 v8, acc61                       // glvw 15 mb 0 tt1 55 r 0
s_nop 1                                            // v_accvgpr read vgpr after write vgpr: 2 wait states
ds_bpermute_b32 v8, v0, v8, offset:4               // permute edge values
s_waitcnt 0                                        // wait for swizzle operation
v_accvgpr_write_b32 acc61, v5                      // 
v_accvgpr_write_b32 acc125, v6                     // 
v_accvgpr_write_b32 acc189, v7                     // 
v_accvgpr_write_b32 acc253, v8                     // 
v_accvgpr_read_b32 v5, acc78                       // glvw 15 mb 0 tt1 56 r 0
v_accvgpr_read_b32 v6, acc142                      // glvw 15 mb 0 tt1 56 r 0
v_accvgpr_read_b32 v7, acc206                      // glvw 15 mb 0 tt1 56 r 0
v_accvgpr_read_b32 v8, acc14                       // glvw 15 mb 0 tt1 56 r 0
s_nop 1                                            // v_accvgpr read vgpr after write vgpr: 2 wait states
ds_bpermute_b32 v8, v0, v8, offset:4               // permute edge values
s_waitcnt 0                                        // wait for swizzle operation
v_accvgpr_write_b32 acc14, v5                      // 
v_accvgpr_write_b32 acc78, v6                      // 
v_accvgpr_write_b32 acc142, v7                     // 
v_accvgpr_write_b32 acc206, v8                     // 
v_accvgpr_read_b32 v5, acc94                       // glvw 15 mb 0 tt1 57 r 0
v_accvgpr_read_b32 v6, acc158                      // glvw 15 mb 0 tt1 57 r 0
v_accvgpr_read_b32 v7, acc222                      // glvw 15 mb 0 tt1 57 r 0
v_accvgpr_read_b32 v8, acc30                       // glvw 15 mb 0 tt1 57 r 0
s_nop 1                                            // v_accvgpr read vgpr after write vgpr: 2 wait states
ds_bpermute_b32 v8, v0, v8, offset:4               // permute edge values
s_waitcnt 0                                        // wait for swizzle operation
v_accvgpr_write_b32 acc30, v5                      // 
v_accvgpr_write_b32 acc94, v6                      // 
v_accvgpr_write_b32 acc158, v7                     // 
v_accvgpr_write_b32 acc222, v8                     // 
v_accvgpr_read_b32 v5, acc110                      // glvw 15 mb 0 tt1 58 r 0
v_accvgpr_read_b32 v6, acc174                      // glvw 15 mb 0 tt1 58 r 0
v_accvgpr_read_b32 v7, acc238                      // glvw 15 mb 0 tt1 58 r 0
v_accvgpr_read_b32 v8, acc46                       // glvw 15 mb 0 tt1 58 r 0
s_nop 1                                            // v_accvgpr read vgpr after write vgpr: 2 wait states
ds_bpermute_b32 v8, v0, v8, offset:4               // permute edge values
s_waitcnt 0                                        // wait for swizzle operation
v_accvgpr_write_b32 acc46, v5                      // 
v_accvgpr_write_b32 acc110, v6                     // 
v_accvgpr_write_b32 acc174, v7                     // 
v_accvgpr_write_b32 acc238, v8                     // 
v_accvgpr_read_b32 v5, acc126                      // glvw 15 mb 0 tt1 59 r 0
v_accvgpr_read_b32 v6, acc190                      // glvw 15 mb 0 tt1 59 r 0
v_accvgpr_read_b32 v7, acc254                      // glvw 15 mb 0 tt1 59 r 0
v_accvgpr_read_b32 v8, acc62                       // glvw 15 mb 0 tt1 59 r 0
s_nop 1                                            // v_accvgpr read vgpr after write vgpr: 2 wait states
ds_bpermute_b32 v8, v0, v8, offset:4               // permute edge values
s_waitcnt 0                                        // wait for swizzle operation
v_accvgpr_write_b32 acc62, v5                      // 
v_accvgpr_write_b32 acc126, v6                     // 
v_accvgpr_write_b32 acc190, v7                     // 
v_accvgpr_write_b32 acc254, v8                     // 
v_accvgpr_read_b32 v5, acc79                       // glvw 15 mb 0 tt1 60 r 0
v_accvgpr_read_b32 v6, acc143                      // glvw 15 mb 0 tt1 60 r 0
v_accvgpr_read_b32 v7, acc207                      // glvw 15 mb 0 tt1 60 r 0
v_accvgpr_read_b32 v8, acc15                       // glvw 15 mb 0 tt1 60 r 0
s_nop 1                                            // v_accvgpr read vgpr after write vgpr: 2 wait states
ds_bpermute_b32 v8, v0, v8, offset:4               // permute edge values
s_waitcnt 0                                        // wait for swizzle operation
v_accvgpr_write_b32 acc15, v5                      // 
v_accvgpr_write_b32 acc79, v6                      // 
v_accvgpr_write_b32 acc143, v7                     // 
v_accvgpr_write_b32 acc207, v8                     // 
v_accvgpr_read_b32 v5, acc95                       // glvw 15 mb 0 tt1 61 r 0
v_accvgpr_read_b32 v6, acc159                      // glvw 15 mb 0 tt1 61 r 0
v_accvgpr_read_b32 v7, acc223                      // glvw 15 mb 0 tt1 61 r 0
v_accvgpr_read_b32 v8, acc31                       // glvw 15 mb 0 tt1 61 r 0
s_nop 1                                            // v_accvgpr read vgpr after write vgpr: 2 wait states
ds_bpermute_b32 v8, v0, v8, offset:4               // permute edge values
s_waitcnt 0                                        // wait for swizzle operation
v_accvgpr_write_b32 acc31, v5                      // 
v_accvgpr_write_b32 acc95, v6                      // 
v_accvgpr_write_b32 acc159, v7                     // 
v_accvgpr_write_b32 acc223, v8                     // 
v_accvgpr_read_b32 v5, acc111                      // glvw 15 mb 0 tt1 62 r 0
v_accvgpr_read_b32 v6, acc175                      // glvw 15 mb 0 tt1 62 r 0
v_accvgpr_read_b32 v7, acc239                      // glvw 15 mb 0 tt1 62 r 0
v_accvgpr_read_b32 v8, acc47                       // glvw 15 mb 0 tt1 62 r 0
s_nop 1                                            // v_accvgpr read vgpr after write vgpr: 2 wait states
ds_bpermute_b32 v8, v0, v8, offset:4               // permute edge values
s_waitcnt 0                                        // wait for swizzle operation
v_accvgpr_write_b32 acc47, v5                      // 
v_accvgpr_write_b32 acc111, v6                     // 
v_accvgpr_write_b32 acc175, v7                     // 
v_accvgpr_write_b32 acc239, v8                     // 
v_accvgpr_read_b32 v5, acc127                      // glvw 15 mb 0 tt1 63 r 0
v_accvgpr_read_b32 v6, acc191                      // glvw 15 mb 0 tt1 63 r 0
v_accvgpr_read_b32 v7, acc255                      // glvw 15 mb 0 tt1 63 r 0
v_accvgpr_read_b32 v8, acc63                       // glvw 15 mb 0 tt1 63 r 0
s_nop 1                                            // v_accvgpr read vgpr after write vgpr: 2 wait states
ds_bpermute_b32 v8, v0, v8, offset:4               // permute edge values
s_waitcnt 0                                        // wait for swizzle operation
v_accvgpr_write_b32 acc63, v5                      // 
v_accvgpr_write_b32 acc127, v6                     // 
v_accvgpr_write_b32 acc191, v7                     // 
v_accvgpr_write_b32 acc255, v8                     // 
s_mov_b64 s[42:43], 0xFFFFFFFFFFFFFFFF             // to restore all threads active
s_or_saveexec_b64 vcc, s[42:43]                    // all threads active
s_branch label_0222                                // done shifting

label_0222: // end shift0



/* not-LocalSplitU: global write indices */

/* computeStoreVgprs */
v_lshrrev_b32 v4, 6, v[vgprSerial]                 // v4 = v[vgprSerial] / 64
v_lshrrev_b32 v1, 1, v4                            // v1 = v4 / 2
v_mul_lo_u32 v1, 0x20, v1                          // wave coordination offset 1
v_and_b32 v5, 31, v[vgprSerial]                    // v5 = v[vgprSerial] % 32
_v_add_lshl_u32 v1, v5, v1, 2                      // coordination 1 = vwb *(wave_id1 + tid1)
v_mul_lo_u32 v2, v1, s[sgprStrideC1J]              //  offset 1
v_mul_lo_u32 v3, v1, s[sgprStrideD1J]              //  offset 1
v_and_b32 v0, 63, v[vgprSerial]                    // v0 = v[vgprSerial] % 64
v_lshrrev_b32 v0, 5, v0                            // v0 = v0 / 32
v_lshlrev_b32 v0, 0x2, v0                          // thread0 * continuous_output
v_and_b32 v5, 1, v4                                // v5 = v4 % 2
v_mul_lo_u32 v5, 0x20, v5                          // wave coordination offset 0
_v_add_lshl_u32 v0, v5, v0, 2                      // coordination 0 = vwa *(wave_id0 + tid0)
s_mul_i32 s42, 256, s[sgprWorkGroup0]              // wgp0 * MT0
_v_add_u32 v0, s42, v0                             // coord 0 = (tid0/MI_m)*4 + waveG0*MIB_m + MT0*SG0
s_mul_i32 s42, 256, s[sgprWorkGroup1]              // wgp1 * MT1
_v_add_u32 v1, s42, v1                             // coord 1 = (tid0%MI_m) + waveG1*MIB_n + MT1*SG1


/* not-LocalSplitU: global write */

s_cmpk_eq_u32 s[sgprBeta], 0x0                     // Beta == 0
s_cbranch_scc0 GW_Beta_239                         // Branch if Beta is not zero

s_and_b32 s64, 255, s[sgprSizeI]                   // s64 = s[sgprSizeI] % 256
s_add_u32 s65, -0x1, s[sgprNumWorkGroups0]         // 
s_cmp_ge_u32 s[sgprWorkGroup0], s65                // wg0 >= nwg0-1 ?
s_cselect_b32 s64, s64, 0                          // set rMT0
s_cmpk_gt_u32 s64, 0x0                             // rMT0 > 0
s_cbranch_scc1 GW_B0_E1_230                        // jump if edges required
s_and_b32 s64, 255, s[sgprSizeJ]                   // s64 = s[sgprSizeJ] % 256
s_add_u32 s65, -0x1, s[sgprNumWorkGroups1]         // 
s_cmp_ge_u32 s[sgprWorkGroup1], s65                // wg1 >= nwg1-1
s_cselect_b32 s64, s64, 0                          // set rMT1
s_cmpk_gt_u32 s64, 0x0                             // rMT1 > 0
s_cbranch_scc1 GW_B0_E1_230                        // jump if edges required
GW_B0_E0_227:

/* edge=0, allocate 2 sgpr. perBatchTmpS=2 perBatchMaskS=0 perElementMaskS=0 elementsPerBatch=60 */
/* optSingleColVgpr=1 optSharedColVgpr=0 optSGPRUsage=BufferLoad_Mask optSrdIncForRow=1 */

/******************************************/
/* Global Write Alpha Batch #0 (d1,d0,vc1,vc0) = */
/*    (0,0,0,0:vw4); (0,0,0,4:vw4); (0,0,0,8:vw4); (0,0,0,12:vw4); (0,1,0,0:vw4); (0,1,0,4:vw4); (0,1,0,8:vw4); (0,1,0,12:vw4); (0,2,0,0:vw4); (0,2,0,4:vw4); (0,2,0,8:vw4); (0,2,0,12:vw4); (0,3,0,0:vw4); (0,3,0,4:vw4); (0,3,0,8:vw4); (0,3,0,12:vw4); (0,0,1,0:vw4); (0,0,1,4:vw4); (0,0,1,8:vw4); (0,0,1,12:vw4); (0,1,1,0:vw4); (0,1,1,4:vw4); (0,1,1,8:vw4); (0,1,1,12:vw4); (0,2,1,0:vw4); (0,2,1,4:vw4); (0,2,1,8:vw4); (0,2,1,12:vw4); (0,3,1,0:vw4); (0,3,1,4:vw4); (0,3,1,8:vw4); (0,3,1,12:vw4); (0,0,2,0:vw4); (0,0,2,4:vw4); (0,0,2,8:vw4); (0,0,2,12:vw4); (0,1,2,0:vw4); (0,1,2,4:vw4); (0,1,2,8:vw4); (0,1,2,12:vw4); (0,2,2,0:vw4); (0,2,2,4:vw4); (0,2,2,8:vw4); (0,2,2,12:vw4); (0,3,2,0:vw4); (0,3,2,4:vw4); (0,3,2,8:vw4); (0,3,2,12:vw4); (0,0,3,0:vw4); (0,0,3,4:vw4); (0,0,3,8:vw4); (0,0,3,12:vw4); (0,1,3,0:vw4); (0,1,3,4:vw4); (0,1,3,8:vw4); (0,1,3,12:vw4); (0,2,3,0:vw4); (0,2,3,4:vw4); (0,2,3,8:vw4); (0,2,3,12:vw4) */
/******************************************/

/* calc coords, apply mask, and issue loads (if necessary) */
/* (d1,vc1,d0,vc0)=(0,0,0,0) */
/* (d1,vc1,d0,vc0)=(0,0,0,4) */
	;; [unrolled: 1-line block ×60, first 2 shown]
_v_add_lshl_u32 v6, v3, v0, 0x2                    // optSingleColVgpr scaleToBpe: sharedAddrVgpr <- cinRowPtr + coord0, scaled by BPE. BSHERE:coord0=0, coord0Vgpr=0
v_accvgpr_read_b32 v[vgprValuC+8], acc0 // copy acc to vreg[0]
v_accvgpr_read_b32 v[vgprValuC+9], acc16 // copy acc to vreg[1]
v_accvgpr_read_b32 v[vgprValuC+10], acc32 // copy acc to vreg[2]
v_accvgpr_read_b32 v[vgprValuC+11], acc48 // copy acc to vreg[3]
v_accvgpr_read_b32 v[vgprValuC+12], acc1 // copy acc to vreg[4]
v_accvgpr_read_b32 v[vgprValuC+13], acc17 // copy acc to vreg[5]
v_accvgpr_read_b32 v[vgprValuC+14], acc33 // copy acc to vreg[6]
v_accvgpr_read_b32 v[vgprValuC+15], acc49 // copy acc to vreg[7]
v_accvgpr_read_b32 v[vgprValuC+16], acc2 // copy acc to vreg[8]
v_accvgpr_read_b32 v[vgprValuC+17], acc18 // copy acc to vreg[9]
v_accvgpr_read_b32 v[vgprValuC+18], acc34 // copy acc to vreg[10]
v_accvgpr_read_b32 v[vgprValuC+19], acc50 // copy acc to vreg[11]
v_accvgpr_read_b32 v[vgprValuC+20], acc3 // copy acc to vreg[12]
v_accvgpr_read_b32 v[vgprValuC+21], acc19 // copy acc to vreg[13]
v_accvgpr_read_b32 v[vgprValuC+22], acc35 // copy acc to vreg[14]
v_accvgpr_read_b32 v[vgprValuC+23], acc51 // copy acc to vreg[15]
v_accvgpr_read_b32 v[vgprValuC+24], acc4 // copy acc to vreg[16]
v_accvgpr_read_b32 v[vgprValuC+25], acc20 // copy acc to vreg[17]
v_accvgpr_read_b32 v[vgprValuC+26], acc36 // copy acc to vreg[18]
v_accvgpr_read_b32 v[vgprValuC+27], acc52 // copy acc to vreg[19]
v_accvgpr_read_b32 v[vgprValuC+28], acc5 // copy acc to vreg[20]
v_accvgpr_read_b32 v[vgprValuC+29], acc21 // copy acc to vreg[21]
v_accvgpr_read_b32 v[vgprValuC+30], acc37 // copy acc to vreg[22]
v_accvgpr_read_b32 v[vgprValuC+31], acc53 // copy acc to vreg[23]
v_accvgpr_read_b32 v[vgprValuC+32], acc6 // copy acc to vreg[24]
v_accvgpr_read_b32 v[vgprValuC+33], acc22 // copy acc to vreg[25]
v_accvgpr_read_b32 v[vgprValuC+34], acc38 // copy acc to vreg[26]
v_accvgpr_read_b32 v[vgprValuC+35], acc54 // copy acc to vreg[27]
v_accvgpr_read_b32 v[vgprValuC+44], acc7 // copy acc to vreg[28]
v_accvgpr_read_b32 v[vgprValuC+45], acc23 // copy acc to vreg[29]
v_accvgpr_read_b32 v[vgprValuC+46], acc39 // copy acc to vreg[30]
v_accvgpr_read_b32 v[vgprValuC+47], acc55 // copy acc to vreg[31]
v_accvgpr_read_b32 v[vgprValuC+48], acc8 // copy acc to vreg[32]
v_accvgpr_read_b32 v[vgprValuC+49], acc24 // copy acc to vreg[33]
v_accvgpr_read_b32 v[vgprValuC+50], acc40 // copy acc to vreg[34]
v_accvgpr_read_b32 v[vgprValuC+51], acc56 // copy acc to vreg[35]
v_accvgpr_read_b32 v[vgprValuC+52], acc9 // copy acc to vreg[36]
v_accvgpr_read_b32 v[vgprValuC+53], acc25 // copy acc to vreg[37]
v_accvgpr_read_b32 v[vgprValuC+54], acc41 // copy acc to vreg[38]
v_accvgpr_read_b32 v[vgprValuC+55], acc57 // copy acc to vreg[39]
v_accvgpr_read_b32 v[vgprValuC+56], acc10 // copy acc to vreg[40]
v_accvgpr_read_b32 v[vgprValuC+57], acc26 // copy acc to vreg[41]
v_accvgpr_read_b32 v[vgprValuC+58], acc42 // copy acc to vreg[42]
v_accvgpr_read_b32 v[vgprValuC+59], acc58 // copy acc to vreg[43]
v_accvgpr_read_b32 v[vgprValuC+60], acc11 // copy acc to vreg[44]
v_accvgpr_read_b32 v[vgprValuC+61], acc27 // copy acc to vreg[45]
v_accvgpr_read_b32 v[vgprValuC+62], acc43 // copy acc to vreg[46]
v_accvgpr_read_b32 v[vgprValuC+63], acc59 // copy acc to vreg[47]
v_accvgpr_read_b32 v[vgprValuC+64], acc12 // copy acc to vreg[48]
v_accvgpr_read_b32 v[vgprValuC+65], acc28 // copy acc to vreg[49]
v_accvgpr_read_b32 v[vgprValuC+66], acc44 // copy acc to vreg[50]
v_accvgpr_read_b32 v[vgprValuC+67], acc60 // copy acc to vreg[51]
v_accvgpr_read_b32 v[vgprValuC+68], acc13 // copy acc to vreg[52]
v_accvgpr_read_b32 v[vgprValuC+69], acc29 // copy acc to vreg[53]
v_accvgpr_read_b32 v[vgprValuC+70], acc45 // copy acc to vreg[54]
v_accvgpr_read_b32 v[vgprValuC+71], acc61 // copy acc to vreg[55]
v_accvgpr_read_b32 v[vgprValuC+72], acc14 // copy acc to vreg[56]
v_accvgpr_read_b32 v[vgprValuC+73], acc30 // copy acc to vreg[57]
v_accvgpr_read_b32 v[vgprValuC+74], acc46 // copy acc to vreg[58]
v_accvgpr_read_b32 v[vgprValuC+75], acc62 // copy acc to vreg[59]
v_accvgpr_read_b32 v[vgprValuC+76], acc15 // copy acc to vreg[60]
v_accvgpr_read_b32 v[vgprValuC+77], acc31 // copy acc to vreg[61]
v_accvgpr_read_b32 v[vgprValuC+78], acc47 // copy acc to vreg[62]
v_accvgpr_read_b32 v[vgprValuC+79], acc63 // copy acc to vreg[63]
v_accvgpr_read_b32 v[vgprValuC+80], acc64 // copy acc to vreg[64]
v_accvgpr_read_b32 v[vgprValuC+81], acc80 // copy acc to vreg[65]
v_accvgpr_read_b32 v[vgprValuC+82], acc96 // copy acc to vreg[66]
v_accvgpr_read_b32 v[vgprValuC+83], acc112 // copy acc to vreg[67]
v_accvgpr_read_b32 v[vgprValuC+84], acc65 // copy acc to vreg[68]
v_accvgpr_read_b32 v[vgprValuC+85], acc81 // copy acc to vreg[69]
v_accvgpr_read_b32 v[vgprValuC+86], acc97 // copy acc to vreg[70]
v_accvgpr_read_b32 v[vgprValuC+87], acc113 // copy acc to vreg[71]
v_accvgpr_read_b32 v[vgprValuC+88], acc66 // copy acc to vreg[72]
v_accvgpr_read_b32 v[vgprValuC+89], acc82 // copy acc to vreg[73]
v_accvgpr_read_b32 v[vgprValuC+90], acc98 // copy acc to vreg[74]
v_accvgpr_read_b32 v[vgprValuC+91], acc114 // copy acc to vreg[75]
v_accvgpr_read_b32 v[vgprValuC+92], acc67 // copy acc to vreg[76]
v_accvgpr_read_b32 v[vgprValuC+93], acc83 // copy acc to vreg[77]
v_accvgpr_read_b32 v[vgprValuC+94], acc99 // copy acc to vreg[78]
v_accvgpr_read_b32 v[vgprValuC+95], acc115 // copy acc to vreg[79]
v_accvgpr_read_b32 v[vgprValuC+96], acc68 // copy acc to vreg[80]
v_accvgpr_read_b32 v[vgprValuC+97], acc84 // copy acc to vreg[81]
v_accvgpr_read_b32 v[vgprValuC+98], acc100 // copy acc to vreg[82]
v_accvgpr_read_b32 v[vgprValuC+99], acc116 // copy acc to vreg[83]
v_accvgpr_read_b32 v[vgprValuC+100], acc69 // copy acc to vreg[84]
v_accvgpr_read_b32 v[vgprValuC+101], acc85 // copy acc to vreg[85]
v_accvgpr_read_b32 v[vgprValuC+102], acc101 // copy acc to vreg[86]
v_accvgpr_read_b32 v[vgprValuC+103], acc117 // copy acc to vreg[87]
v_accvgpr_read_b32 v[vgprValuC+104], acc70 // copy acc to vreg[88]
v_accvgpr_read_b32 v[vgprValuC+105], acc86 // copy acc to vreg[89]
v_accvgpr_read_b32 v[vgprValuC+106], acc102 // copy acc to vreg[90]
v_accvgpr_read_b32 v[vgprValuC+107], acc118 // copy acc to vreg[91]
v_accvgpr_read_b32 v[vgprValuC+108], acc71 // copy acc to vreg[92]
v_accvgpr_read_b32 v[vgprValuC+109], acc87 // copy acc to vreg[93]
v_accvgpr_read_b32 v[vgprValuC+110], acc103 // copy acc to vreg[94]
v_accvgpr_read_b32 v[vgprValuC+111], acc119 // copy acc to vreg[95]
v_accvgpr_read_b32 v[vgprValuC+112], acc72 // copy acc to vreg[96]
v_accvgpr_read_b32 v[vgprValuC+113], acc88 // copy acc to vreg[97]
v_accvgpr_read_b32 v[vgprValuC+114], acc104 // copy acc to vreg[98]
v_accvgpr_read_b32 v[vgprValuC+115], acc120 // copy acc to vreg[99]
v_accvgpr_read_b32 v[vgprValuC+116], acc73 // copy acc to vreg[100]
v_accvgpr_read_b32 v[vgprValuC+117], acc89 // copy acc to vreg[101]
v_accvgpr_read_b32 v[vgprValuC+118], acc105 // copy acc to vreg[102]
v_accvgpr_read_b32 v[vgprValuC+119], acc121 // copy acc to vreg[103]
v_accvgpr_read_b32 v[vgprValuC+120], acc74 // copy acc to vreg[104]
v_accvgpr_read_b32 v[vgprValuC+121], acc90 // copy acc to vreg[105]
v_accvgpr_read_b32 v[vgprValuC+122], acc106 // copy acc to vreg[106]
v_accvgpr_read_b32 v[vgprValuC+123], acc122 // copy acc to vreg[107]
v_accvgpr_read_b32 v[vgprValuC+124], acc75 // copy acc to vreg[108]
v_accvgpr_read_b32 v[vgprValuC+125], acc91 // copy acc to vreg[109]
v_accvgpr_read_b32 v[vgprValuC+126], acc107 // copy acc to vreg[110]
v_accvgpr_read_b32 v[vgprValuC+127], acc123 // copy acc to vreg[111]
v_accvgpr_read_b32 v[vgprValuC+128], acc76 // copy acc to vreg[112]
v_accvgpr_read_b32 v[vgprValuC+129], acc92 // copy acc to vreg[113]
v_accvgpr_read_b32 v[vgprValuC+130], acc108 // copy acc to vreg[114]
v_accvgpr_read_b32 v[vgprValuC+131], acc124 // copy acc to vreg[115]
v_accvgpr_read_b32 v[vgprValuC+132], acc77 // copy acc to vreg[116]
v_accvgpr_read_b32 v[vgprValuC+133], acc93 // copy acc to vreg[117]
v_accvgpr_read_b32 v[vgprValuC+134], acc109 // copy acc to vreg[118]
v_accvgpr_read_b32 v[vgprValuC+135], acc125 // copy acc to vreg[119]
v_accvgpr_read_b32 v[vgprValuC+136], acc78 // copy acc to vreg[120]
v_accvgpr_read_b32 v[vgprValuC+137], acc94 // copy acc to vreg[121]
v_accvgpr_read_b32 v[vgprValuC+138], acc110 // copy acc to vreg[122]
v_accvgpr_read_b32 v[vgprValuC+139], acc126 // copy acc to vreg[123]
v_accvgpr_read_b32 v[vgprValuC+140], acc79 // copy acc to vreg[124]
v_accvgpr_read_b32 v[vgprValuC+141], acc95 // copy acc to vreg[125]
v_accvgpr_read_b32 v[vgprValuC+142], acc111 // copy acc to vreg[126]
v_accvgpr_read_b32 v[vgprValuC+143], acc127 // copy acc to vreg[127]
v_accvgpr_read_b32 v[vgprValuC+144], acc128 // copy acc to vreg[128]
v_accvgpr_read_b32 v[vgprValuC+145], acc144 // copy acc to vreg[129]
v_accvgpr_read_b32 v[vgprValuC+146], acc160 // copy acc to vreg[130]
v_accvgpr_read_b32 v[vgprValuC+147], acc176 // copy acc to vreg[131]
v_accvgpr_read_b32 v[vgprValuC+148], acc129 // copy acc to vreg[132]
v_accvgpr_read_b32 v[vgprValuC+149], acc145 // copy acc to vreg[133]
v_accvgpr_read_b32 v[vgprValuC+150], acc161 // copy acc to vreg[134]
v_accvgpr_read_b32 v[vgprValuC+151], acc177 // copy acc to vreg[135]
v_accvgpr_read_b32 v[vgprValuC+152], acc130 // copy acc to vreg[136]
v_accvgpr_read_b32 v[vgprValuC+153], acc146 // copy acc to vreg[137]
v_accvgpr_read_b32 v[vgprValuC+154], acc162 // copy acc to vreg[138]
v_accvgpr_read_b32 v[vgprValuC+155], acc178 // copy acc to vreg[139]
v_accvgpr_read_b32 v[vgprValuC+156], acc131 // copy acc to vreg[140]
v_accvgpr_read_b32 v[vgprValuC+157], acc147 // copy acc to vreg[141]
v_accvgpr_read_b32 v[vgprValuC+158], acc163 // copy acc to vreg[142]
v_accvgpr_read_b32 v[vgprValuC+159], acc179 // copy acc to vreg[143]
v_accvgpr_read_b32 v[vgprValuC+160], acc132 // copy acc to vreg[144]
v_accvgpr_read_b32 v[vgprValuC+161], acc148 // copy acc to vreg[145]
v_accvgpr_read_b32 v[vgprValuC+162], acc164 // copy acc to vreg[146]
v_accvgpr_read_b32 v[vgprValuC+163], acc180 // copy acc to vreg[147]
v_accvgpr_read_b32 v[vgprValuC+164], acc133 // copy acc to vreg[148]
v_accvgpr_read_b32 v[vgprValuC+165], acc149 // copy acc to vreg[149]
v_accvgpr_read_b32 v[vgprValuC+166], acc165 // copy acc to vreg[150]
v_accvgpr_read_b32 v[vgprValuC+167], acc181 // copy acc to vreg[151]
v_accvgpr_read_b32 v[vgprValuC+168], acc134 // copy acc to vreg[152]
v_accvgpr_read_b32 v[vgprValuC+169], acc150 // copy acc to vreg[153]
v_accvgpr_read_b32 v[vgprValuC+170], acc166 // copy acc to vreg[154]
v_accvgpr_read_b32 v[vgprValuC+171], acc182 // copy acc to vreg[155]
v_accvgpr_read_b32 v[vgprValuC+172], acc135 // copy acc to vreg[156]
v_accvgpr_read_b32 v[vgprValuC+173], acc151 // copy acc to vreg[157]
v_accvgpr_read_b32 v[vgprValuC+174], acc167 // copy acc to vreg[158]
v_accvgpr_read_b32 v[vgprValuC+175], acc183 // copy acc to vreg[159]
v_accvgpr_read_b32 v[vgprValuC+176], acc136 // copy acc to vreg[160]
v_accvgpr_read_b32 v[vgprValuC+177], acc152 // copy acc to vreg[161]
v_accvgpr_read_b32 v[vgprValuC+178], acc168 // copy acc to vreg[162]
v_accvgpr_read_b32 v[vgprValuC+179], acc184 // copy acc to vreg[163]
v_accvgpr_read_b32 v[vgprValuC+180], acc137 // copy acc to vreg[164]
v_accvgpr_read_b32 v[vgprValuC+181], acc153 // copy acc to vreg[165]
v_accvgpr_read_b32 v[vgprValuC+182], acc169 // copy acc to vreg[166]
v_accvgpr_read_b32 v[vgprValuC+183], acc185 // copy acc to vreg[167]
v_accvgpr_read_b32 v[vgprValuC+184], acc138 // copy acc to vreg[168]
v_accvgpr_read_b32 v[vgprValuC+185], acc154 // copy acc to vreg[169]
v_accvgpr_read_b32 v[vgprValuC+186], acc170 // copy acc to vreg[170]
v_accvgpr_read_b32 v[vgprValuC+187], acc186 // copy acc to vreg[171]
v_accvgpr_read_b32 v[vgprValuC+188], acc139 // copy acc to vreg[172]
v_accvgpr_read_b32 v[vgprValuC+189], acc155 // copy acc to vreg[173]
v_accvgpr_read_b32 v[vgprValuC+190], acc171 // copy acc to vreg[174]
v_accvgpr_read_b32 v[vgprValuC+191], acc187 // copy acc to vreg[175]
v_accvgpr_read_b32 v[vgprValuC+192], acc140 // copy acc to vreg[176]
v_accvgpr_read_b32 v[vgprValuC+193], acc156 // copy acc to vreg[177]
v_accvgpr_read_b32 v[vgprValuC+194], acc172 // copy acc to vreg[178]
v_accvgpr_read_b32 v[vgprValuC+195], acc188 // copy acc to vreg[179]
v_accvgpr_read_b32 v[vgprValuC+196], acc141 // copy acc to vreg[180]
v_accvgpr_read_b32 v[vgprValuC+197], acc157 // copy acc to vreg[181]
v_accvgpr_read_b32 v[vgprValuC+198], acc173 // copy acc to vreg[182]
v_accvgpr_read_b32 v[vgprValuC+199], acc189 // copy acc to vreg[183]
v_accvgpr_read_b32 v[vgprValuC+200], acc142 // copy acc to vreg[184]
v_accvgpr_read_b32 v[vgprValuC+201], acc158 // copy acc to vreg[185]
v_accvgpr_read_b32 v[vgprValuC+202], acc174 // copy acc to vreg[186]
v_accvgpr_read_b32 v[vgprValuC+203], acc190 // copy acc to vreg[187]
v_accvgpr_read_b32 v[vgprValuC+204], acc143 // copy acc to vreg[188]
v_accvgpr_read_b32 v[vgprValuC+205], acc159 // copy acc to vreg[189]
v_accvgpr_read_b32 v[vgprValuC+206], acc175 // copy acc to vreg[190]
v_accvgpr_read_b32 v[vgprValuC+207], acc191 // copy acc to vreg[191]
v_accvgpr_read_b32 v[vgprValuC+208], acc192 // copy acc to vreg[192]
v_accvgpr_read_b32 v[vgprValuC+209], acc208 // copy acc to vreg[193]
v_accvgpr_read_b32 v[vgprValuC+210], acc224 // copy acc to vreg[194]
v_accvgpr_read_b32 v[vgprValuC+211], acc240 // copy acc to vreg[195]
v_accvgpr_read_b32 v[vgprValuC+212], acc193 // copy acc to vreg[196]
v_accvgpr_read_b32 v[vgprValuC+213], acc209 // copy acc to vreg[197]
v_accvgpr_read_b32 v[vgprValuC+214], acc225 // copy acc to vreg[198]
v_accvgpr_read_b32 v[vgprValuC+215], acc241 // copy acc to vreg[199]
v_accvgpr_read_b32 v[vgprValuC+216], acc194 // copy acc to vreg[200]
v_accvgpr_read_b32 v[vgprValuC+217], acc210 // copy acc to vreg[201]
v_accvgpr_read_b32 v[vgprValuC+218], acc226 // copy acc to vreg[202]
v_accvgpr_read_b32 v[vgprValuC+219], acc242 // copy acc to vreg[203]
v_accvgpr_read_b32 v[vgprValuC+220], acc195 // copy acc to vreg[204]
v_accvgpr_read_b32 v[vgprValuC+221], acc211 // copy acc to vreg[205]
v_accvgpr_read_b32 v[vgprValuC+222], acc227 // copy acc to vreg[206]
v_accvgpr_read_b32 v[vgprValuC+223], acc243 // copy acc to vreg[207]
v_accvgpr_read_b32 v[vgprValuC+224], acc196 // copy acc to vreg[208]
v_accvgpr_read_b32 v[vgprValuC+225], acc212 // copy acc to vreg[209]
v_accvgpr_read_b32 v[vgprValuC+226], acc228 // copy acc to vreg[210]
v_accvgpr_read_b32 v[vgprValuC+227], acc244 // copy acc to vreg[211]
v_accvgpr_read_b32 v[vgprValuC+228], acc197 // copy acc to vreg[212]
v_accvgpr_read_b32 v[vgprValuC+229], acc213 // copy acc to vreg[213]
v_accvgpr_read_b32 v[vgprValuC+230], acc229 // copy acc to vreg[214]
v_accvgpr_read_b32 v[vgprValuC+231], acc245 // copy acc to vreg[215]
v_accvgpr_read_b32 v[vgprValuC+232], acc198 // copy acc to vreg[216]
v_accvgpr_read_b32 v[vgprValuC+233], acc214 // copy acc to vreg[217]
v_accvgpr_read_b32 v[vgprValuC+234], acc230 // copy acc to vreg[218]
v_accvgpr_read_b32 v[vgprValuC+235], acc246 // copy acc to vreg[219]
v_accvgpr_read_b32 v[vgprValuC+236], acc199 // copy acc to vreg[220]
v_accvgpr_read_b32 v[vgprValuC+237], acc215 // copy acc to vreg[221]
v_accvgpr_read_b32 v[vgprValuC+238], acc231 // copy acc to vreg[222]
v_accvgpr_read_b32 v[vgprValuC+239], acc247 // copy acc to vreg[223]
v_accvgpr_read_b32 v[vgprValuC+240], acc200 // copy acc to vreg[224]
v_accvgpr_read_b32 v[vgprValuC+241], acc216 // copy acc to vreg[225]
v_accvgpr_read_b32 v[vgprValuC+242], acc232 // copy acc to vreg[226]
v_accvgpr_read_b32 v[vgprValuC+243], acc248 // copy acc to vreg[227]
v_accvgpr_read_b32 v[vgprValuC+244], acc201 // copy acc to vreg[228]
v_accvgpr_read_b32 v[vgprValuC+245], acc217 // copy acc to vreg[229]
v_accvgpr_read_b32 v[vgprValuC+246], acc233 // copy acc to vreg[230]
v_accvgpr_read_b32 v[vgprValuC+247], acc249 // copy acc to vreg[231]
v_accvgpr_read_b32 v[vgprValuC+248], acc202 // copy acc to vreg[232]
v_accvgpr_read_b32 v[vgprValuC+249], acc218 // copy acc to vreg[233]
v_accvgpr_read_b32 v[vgprValuC+250], acc234 // copy acc to vreg[234]
v_accvgpr_read_b32 v[vgprValuC+251], acc250 // copy acc to vreg[235]
v_accvgpr_read_b32 v[vgprValuC+252], acc203 // copy acc to vreg[236]
v_accvgpr_read_b32 v[vgprValuC+253], acc219 // copy acc to vreg[237]
v_accvgpr_read_b32 v[vgprValuC+254], acc235 // copy acc to vreg[238]
v_accvgpr_read_b32 v[vgprValuC+255], acc251 // copy acc to vreg[239]
s_nop 1                                            // 2 wait states required before reading vgpr

/* rC *= alpha batchElements=[(0, 0, 0, 0), (0, 0, 0, 4), (0, 0, 0, 8), (0, 0, 0, 12), (0, 1, 0, 0), (0, 1, 0, 4), (0, 1, 0, 8), (0, 1, 0, 12), (0, 2, 0, 0), (0, 2, 0, 4), (0, 2, 0, 8), (0, 2, 0, 12), (0, 3, 0, 0), (0, 3, 0, 4), (0, 3, 0, 8), (0, 3, 0, 12), (0, 0, 1, 0), (0, 0, 1, 4), (0, 0, 1, 8), (0, 0, 1, 12), (0, 1, 1, 0), (0, 1, 1, 4), (0, 1, 1, 8), (0, 1, 1, 12), (0, 2, 1, 0), (0, 2, 1, 4), (0, 2, 1, 8), (0, 2, 1, 12), (0, 3, 1, 0), (0, 3, 1, 4), (0, 3, 1, 8), (0, 3, 1, 12), (0, 0, 2, 0), (0, 0, 2, 4), (0, 0, 2, 8), (0, 0, 2, 12), (0, 1, 2, 0), (0, 1, 2, 4), (0, 1, 2, 8), (0, 1, 2, 12), (0, 2, 2, 0), (0, 2, 2, 4), (0, 2, 2, 8), (0, 2, 2, 12), (0, 3, 2, 0), (0, 3, 2, 4), (0, 3, 2, 8), (0, 3, 2, 12), (0, 0, 3, 0), (0, 0, 3, 4), (0, 0, 3, 8), (0, 0, 3, 12), (0, 1, 3, 0), (0, 1, 3, 4), (0, 1, 3, 8), (0, 1, 3, 12), (0, 2, 3, 0), (0, 2, 3, 4), (0, 2, 3, 8), (0, 2, 3, 12)] */
v_mul_lo_u32 v[vgprValuC+8], s[sgprAlpha], v[vgprValuC+8] // *= alpha
v_mul_lo_u32 v[vgprValuC+9], s[sgprAlpha], v[vgprValuC+9] // *= alpha
	;; [unrolled: 1-line block ×240, first 2 shown]

/* apply mask, calc new C and issue writes */
_buffer_store_b128 v[8:11], v6, s[sgprSrdD:sgprSrdD+3], 0, offen, offset:0 // store D
_buffer_store_b128 v[12:15], v6, s[sgprSrdD:sgprSrdD+3], 0, offen, offset:16 // store D
_buffer_store_b128 v[16:19], v6, s[sgprSrdD:sgprSrdD+3], 0, offen, offset:32 // store D
_buffer_store_b128 v[20:23], v6, s[sgprSrdD:sgprSrdD+3], 0, offen, offset:48 // store D
_buffer_store_b128 v[24:27], v6, s[sgprSrdD:sgprSrdD+3], 0, offen, offset:128 // store D
_buffer_store_b128 v[28:31], v6, s[sgprSrdD:sgprSrdD+3], 0, offen, offset:144 // store D
_buffer_store_b128 v[32:35], v6, s[sgprSrdD:sgprSrdD+3], 0, offen, offset:160 // store D
_buffer_store_b128 v[44:47], v6, s[sgprSrdD:sgprSrdD+3], 0, offen, offset:176 // store D
_buffer_store_b128 v[48:51], v6, s[sgprSrdD:sgprSrdD+3], 0, offen, offset:256 // store D
_buffer_store_b128 v[52:55], v6, s[sgprSrdD:sgprSrdD+3], 0, offen, offset:272 // store D
_buffer_store_b128 v[56:59], v6, s[sgprSrdD:sgprSrdD+3], 0, offen, offset:288 // store D
_buffer_store_b128 v[60:63], v6, s[sgprSrdD:sgprSrdD+3], 0, offen, offset:304 // store D
_buffer_store_b128 v[64:67], v6, s[sgprSrdD:sgprSrdD+3], 0, offen, offset:384 // store D
_buffer_store_b128 v[68:71], v6, s[sgprSrdD:sgprSrdD+3], 0, offen, offset:400 // store D
_buffer_store_b128 v[72:75], v6, s[sgprSrdD:sgprSrdD+3], 0, offen, offset:416 // store D
_buffer_store_b128 v[76:79], v6, s[sgprSrdD:sgprSrdD+3], 0, offen, offset:432 // store D
s_lshl_b32  s42, s[sgprStrideD1J], 2               // incToNextRow: Scale by BPE
s_add_u32  s[sgprSrdD+0], s[sgprSrdD+0], s42       // incToNextRow: gra SRD += inc(lower)
s_addc_u32  s[sgprSrdD+1], s[sgprSrdD+1], 0        // incToNextRow: gra SRD += inc(upper)
_buffer_store_b128 v[80:83], v6, s[sgprSrdD:sgprSrdD+3], 0, offen, offset:0 // store D
_buffer_store_b128 v[84:87], v6, s[sgprSrdD:sgprSrdD+3], 0, offen, offset:16 // store D
_buffer_store_b128 v[88:91], v6, s[sgprSrdD:sgprSrdD+3], 0, offen, offset:32 // store D
_buffer_store_b128 v[92:95], v6, s[sgprSrdD:sgprSrdD+3], 0, offen, offset:48 // store D
_buffer_store_b128 v[96:99], v6, s[sgprSrdD:sgprSrdD+3], 0, offen, offset:128 // store D
_buffer_store_b128 v[100:103], v6, s[sgprSrdD:sgprSrdD+3], 0, offen, offset:144 // store D
_buffer_store_b128 v[104:107], v6, s[sgprSrdD:sgprSrdD+3], 0, offen, offset:160 // store D
_buffer_store_b128 v[108:111], v6, s[sgprSrdD:sgprSrdD+3], 0, offen, offset:176 // store D
_buffer_store_b128 v[112:115], v6, s[sgprSrdD:sgprSrdD+3], 0, offen, offset:256 // store D
_buffer_store_b128 v[116:119], v6, s[sgprSrdD:sgprSrdD+3], 0, offen, offset:272 // store D
_buffer_store_b128 v[120:123], v6, s[sgprSrdD:sgprSrdD+3], 0, offen, offset:288 // store D
_buffer_store_b128 v[124:127], v6, s[sgprSrdD:sgprSrdD+3], 0, offen, offset:304 // store D
_buffer_store_b128 v[128:131], v6, s[sgprSrdD:sgprSrdD+3], 0, offen, offset:384 // store D
_buffer_store_b128 v[132:135], v6, s[sgprSrdD:sgprSrdD+3], 0, offen, offset:400 // store D
_buffer_store_b128 v[136:139], v6, s[sgprSrdD:sgprSrdD+3], 0, offen, offset:416 // store D
_buffer_store_b128 v[140:143], v6, s[sgprSrdD:sgprSrdD+3], 0, offen, offset:432 // store D
s_lshl_b32  s42, s[sgprStrideD1J], 2               // incToNextRow: Scale by BPE
s_add_u32  s[sgprSrdD+0], s[sgprSrdD+0], s42       // incToNextRow: gra SRD += inc(lower)
s_addc_u32  s[sgprSrdD+1], s[sgprSrdD+1], 0        // incToNextRow: gra SRD += inc(upper)
	;; [unrolled: 19-line block ×3, first 2 shown]
_buffer_store_b128 v[208:211], v6, s[sgprSrdD:sgprSrdD+3], 0, offen, offset:0 // store D
_buffer_store_b128 v[212:215], v6, s[sgprSrdD:sgprSrdD+3], 0, offen, offset:16 // store D
	;; [unrolled: 1-line block ×12, first 2 shown]
s_nop 0                                            // 1 wait state required when next inst writes vgprs held by previous dwordx4 store inst
/* optSingleColVgpr=1 optSharedColVgpr=0 optSGPRUsage=BufferLoad_Mask optSrdIncForRow=1 */

/******************************************/
/* Global Write Alpha Batch #1 (d1,d0,vc1,vc0) = */
/*    (0,3,3,0:vw4); (0,3,3,4:vw4); (0,3,3,8:vw4); (0,3,3,12:vw4) */
/******************************************/

/* calc coords, apply mask, and issue loads (if necessary) */
/* (d1,vc1,d0,vc0)=(0,3,3,0) */
/* (d1,vc1,d0,vc0)=(0,3,3,4) */
	;; [unrolled: 1-line block ×4, first 2 shown]
v_accvgpr_read_b32 v[vgprValuC+8], acc204 // copy acc to vreg[240]
v_accvgpr_read_b32 v[vgprValuC+9], acc220 // copy acc to vreg[241]
v_accvgpr_read_b32 v[vgprValuC+10], acc236 // copy acc to vreg[242]
v_accvgpr_read_b32 v[vgprValuC+11], acc252 // copy acc to vreg[243]
v_accvgpr_read_b32 v[vgprValuC+12], acc205 // copy acc to vreg[244]
v_accvgpr_read_b32 v[vgprValuC+13], acc221 // copy acc to vreg[245]
v_accvgpr_read_b32 v[vgprValuC+14], acc237 // copy acc to vreg[246]
v_accvgpr_read_b32 v[vgprValuC+15], acc253 // copy acc to vreg[247]
v_accvgpr_read_b32 v[vgprValuC+16], acc206 // copy acc to vreg[248]
v_accvgpr_read_b32 v[vgprValuC+17], acc222 // copy acc to vreg[249]
v_accvgpr_read_b32 v[vgprValuC+18], acc238 // copy acc to vreg[250]
v_accvgpr_read_b32 v[vgprValuC+19], acc254 // copy acc to vreg[251]
v_accvgpr_read_b32 v[vgprValuC+20], acc207 // copy acc to vreg[252]
v_accvgpr_read_b32 v[vgprValuC+21], acc223 // copy acc to vreg[253]
v_accvgpr_read_b32 v[vgprValuC+22], acc239 // copy acc to vreg[254]
v_accvgpr_read_b32 v[vgprValuC+23], acc255 // copy acc to vreg[255]
s_nop 1                                            // 2 wait states required before reading vgpr

/* rC *= alpha batchElements=[(0, 3, 3, 0), (0, 3, 3, 4), (0, 3, 3, 8), (0, 3, 3, 12)] */
v_mul_lo_u32 v[vgprValuC+8], s[sgprAlpha], v[vgprValuC+8] // *= alpha
v_mul_lo_u32 v[vgprValuC+9], s[sgprAlpha], v[vgprValuC+9] // *= alpha
	;; [unrolled: 1-line block ×16, first 2 shown]

/* apply mask, calc new C and issue writes */
_buffer_store_b128 v[8:11], v6, s[sgprSrdD:sgprSrdD+3], 0, offen, offset:384 // store D
_buffer_store_b128 v[12:15], v6, s[sgprSrdD:sgprSrdD+3], 0, offen, offset:400 // store D
	;; [unrolled: 1-line block ×4, first 2 shown]
s_nop 0                                            // 1 wait state required when next inst writes vgprs held by previous dwordx4 store inst
s_branch label_GW_End_238                          // jump to end
GW_B0_E1_230:

/* edge=1, allocate 6 sgpr. perBatchTmpS=4 perBatchMaskS=2 perElementMaskS=0 elementsPerBatch=48 */
/* optSingleColVgpr=0 optSharedColVgpr=0 optSGPRUsage=BufferLoad_Edge_Mask optSrdIncForRow=0 */

/******************************************/
/* Global Write Alpha Edge Batch #0 (d1,d0,vc1,vc0) = */
/*    (0,0,0,0:vw4); (0,0,0,4:vw4); (0,0,0,8:vw4); (0,0,0,12:vw4); (0,1,0,0:vw4); (0,1,0,4:vw4); (0,1,0,8:vw4); (0,1,0,12:vw4); (0,2,0,0:vw4); (0,2,0,4:vw4); (0,2,0,8:vw4); (0,2,0,12:vw4); (0,3,0,0:vw4); (0,3,0,4:vw4); (0,3,0,8:vw4); (0,3,0,12:vw4); (0,0,1,0:vw4); (0,0,1,4:vw4); (0,0,1,8:vw4); (0,0,1,12:vw4); (0,1,1,0:vw4); (0,1,1,4:vw4); (0,1,1,8:vw4); (0,1,1,12:vw4); (0,2,1,0:vw4); (0,2,1,4:vw4); (0,2,1,8:vw4); (0,2,1,12:vw4); (0,3,1,0:vw4); (0,3,1,4:vw4); (0,3,1,8:vw4); (0,3,1,12:vw4); (0,0,2,0:vw4); (0,0,2,4:vw4); (0,0,2,8:vw4); (0,0,2,12:vw4); (0,1,2,0:vw4); (0,1,2,4:vw4); (0,1,2,8:vw4); (0,1,2,12:vw4); (0,2,2,0:vw4); (0,2,2,4:vw4); (0,2,2,8:vw4); (0,2,2,12:vw4); (0,3,2,0:vw4); (0,3,2,4:vw4); (0,3,2,8:vw4); (0,3,2,12:vw4) */
/******************************************/

/* calc coords, apply mask, and issue loads (if necessary) */
/* (d1,vc1,d0,vc0)=(0,0,0,0) */
v_cmp_lt_u32 s[64:65], v0, s[sgprSizeI]            // coord0 < size0
v_cmp_lt_u32 s[68:69], v1, s[sgprSizeJ]            // coord1 < size1
s_and_b64 s[68:69], s[64:65], s[68:69]             // in0 && in1
_v_add_lshl_u32 v6, v3, v0, 0x2                    // scaleToBpe: accumulate d0 lower and *= bpe into Cin addr
v_cndmask_b32 v6, -1, v6, s[68:69]                 // LDD clip if OOB. offset
/* (d1,vc1,d0,vc0)=(0,0,0,4) */
_v_add_co_u32 v4, vcc, v0, 4                       // coord0.1: coord0 += d0*sg0*VW + vc0
v_cmp_lt_u32 s[64:65], v4, s[sgprSizeI]            // coord0 < size0
v_cmp_lt_u32 s[68:69], v1, s[sgprSizeJ]            // coord1 < size1
s_and_b64 s[68:69], s[64:65], s[68:69]             // in0 && in1
_v_add_lshl_u32 v7, v3, v4, 0x2                    // scaleToBpe: accumulate d0 lower and *= bpe into Cin addr
v_cndmask_b32 v7, -1, v7, s[68:69]                 // LDD clip if OOB. offset
/* (d1,vc1,d0,vc0)=(0,0,0,8) */
_v_add_co_u32 v4, vcc, v0, 8                       // coord0.1: coord0 += d0*sg0*VW + vc0
v_cmp_lt_u32 s[64:65], v4, s[sgprSizeI]            // coord0 < size0
v_cmp_lt_u32 s[68:69], v1, s[sgprSizeJ]            // coord1 < size1
s_and_b64 s[68:69], s[64:65], s[68:69]             // in0 && in1
_v_add_lshl_u32 v16, v3, v4, 0x2                   // scaleToBpe: accumulate d0 lower and *= bpe into Cin addr
v_cndmask_b32 v16, -1, v16, s[68:69]               // LDD clip if OOB. offset
/* (d1,vc1,d0,vc0)=(0,0,0,12) */
_v_add_co_u32 v4, vcc, v0, 12                      // coord0.1: coord0 += d0*sg0*VW + vc0
v_cmp_lt_u32 s[64:65], v4, s[sgprSizeI]            // coord0 < size0
v_cmp_lt_u32 s[68:69], v1, s[sgprSizeJ]            // coord1 < size1
s_and_b64 s[68:69], s[64:65], s[68:69]             // in0 && in1
_v_add_lshl_u32 v17, v3, v4, 0x2                   // scaleToBpe: accumulate d0 lower and *= bpe into Cin addr
v_cndmask_b32 v17, -1, v17, s[68:69]               // LDD clip if OOB. offset
/* (d1,vc1,d0,vc0)=(0,0,1,0) */
_v_add_co_u32 v4, vcc, v0, 32                      // coord0.1: coord0 += d0*sg0*VW + vc0
	;; [unrolled: 7-line block ×6, first 2 shown]
v_cmp_lt_u32 s[64:65], v4, s[sgprSizeI]            // coord0 < size0
v_cmp_lt_u32 s[68:69], v1, s[sgprSizeJ]            // coord1 < size1
s_and_b64 s[68:69], s[64:65], s[68:69]             // in0 && in1
_v_add_lshl_u32 v41, v3, v4, 0x2                   // scaleToBpe: accumulate d0 lower and *= bpe into Cin addr
v_cndmask_b32 v41, -1, v41, s[68:69]               // LDD clip if OOB. offset
/* (d1,vc1,d0,vc0)=(0,0,2,4) */
s_mov_b32 s64, 68                                  // coordOffset0 d0=2 vc0=4
_v_add_co_u32 v4, vcc, v0, s64                     // coord0.2: coord0 += d0*sg0*VW + vc0
v_cmp_lt_u32 s[64:65], v4, s[sgprSizeI]            // coord0 < size0
v_cmp_lt_u32 s[68:69], v1, s[sgprSizeJ]            // coord1 < size1
s_and_b64 s[68:69], s[64:65], s[68:69]             // in0 && in1
_v_add_lshl_u32 v42, v3, v4, 0x2                   // scaleToBpe: accumulate d0 lower and *= bpe into Cin addr
v_cndmask_b32 v42, -1, v42, s[68:69]               // LDD clip if OOB. offset
/* (d1,vc1,d0,vc0)=(0,0,2,8) */
s_mov_b32 s64, 72                                  // coordOffset0 d0=2 vc0=8
_v_add_co_u32 v4, vcc, v0, s64                     // coord0.2: coord0 += d0*sg0*VW + vc0
	;; [unrolled: 8-line block ×4, first 2 shown]
v_cmp_lt_u32 s[64:65], v4, s[sgprSizeI]            // coord0 < size0
v_cmp_lt_u32 s[68:69], v1, s[sgprSizeJ]            // coord1 < size1
s_and_b64 s[68:69], s[64:65], s[68:69]             // in0 && in1
_v_add_lshl_u32 v65, v3, v4, 0x2                   // scaleToBpe: accumulate d0 lower and *= bpe into Cin addr
v_cndmask_b32 v65, -1, v65, s[68:69]               // LDD clip if OOB. offset
/* (d1,vc1,d0,vc0)=(0,0,3,4) */
s_mov_b32 s64, 100                                 // coordOffset0 d0=3 vc0=4
_v_add_co_u32 v4, vcc, v0, s64                     // coord0.2: coord0 += d0*sg0*VW + vc0
v_cmp_lt_u32 s[64:65], v4, s[sgprSizeI]            // coord0 < size0
v_cmp_lt_u32 s[68:69], v1, s[sgprSizeJ]            // coord1 < size1
s_and_b64 s[68:69], s[64:65], s[68:69]             // in0 && in1
_v_add_lshl_u32 v66, v3, v4, 0x2                   // scaleToBpe: accumulate d0 lower and *= bpe into Cin addr
v_cndmask_b32 v66, -1, v66, s[68:69]               // LDD clip if OOB. offset
/* (d1,vc1,d0,vc0)=(0,0,3,8) */
s_mov_b32 s64, 104                                 // coordOffset0 d0=3 vc0=8
_v_add_co_u32 v4, vcc, v0, s64                     // coord0.2: coord0 += d0*sg0*VW + vc0
	;; [unrolled: 8-line block ×3, first 2 shown]
v_cmp_lt_u32 s[64:65], v4, s[sgprSizeI]            // coord0 < size0
v_cmp_lt_u32 s[68:69], v1, s[sgprSizeJ]            // coord1 < size1
s_and_b64 s[68:69], s[64:65], s[68:69]             // in0 && in1
_v_add_lshl_u32 v84, v3, v4, 0x2                   // scaleToBpe: accumulate d0 lower and *= bpe into Cin addr
v_cndmask_b32 v84, -1, v84, s[68:69]               // LDD clip if OOB. offset
/* (d1,vc1,d0,vc0)=(0,1,0,0) */
_v_add_co_u32 v1, vcc, v1, 1                       // coord1.1: coord1Vgpr += d1*sg1*VW + vc1

/* Fix for UseInitialStridesCD, emitAddressSetupCode */
_v_add_u32 v2, v2, s[sgprStrideC1J]                // ROWINC- Move cinRowPtr to next row
_v_add_u32 v3, v3, s[sgprStrideD1J]                // Move coutRowPtr to next row
v_cmp_lt_u32 s[64:65], v0, s[sgprSizeI]            // coord0 < size0
v_cmp_lt_u32 s[68:69], v1, s[sgprSizeJ]            // coord1 < size1
s_and_b64 s[68:69], s[64:65], s[68:69]             // in0 && in1
_v_add_lshl_u32 v85, v3, v0, 0x2                   // scaleToBpe: accumulate d0 lower and *= bpe into Cin addr
v_cndmask_b32 v85, -1, v85, s[68:69]               // LDD clip if OOB. offset
/* (d1,vc1,d0,vc0)=(0,1,0,4) */
_v_add_co_u32 v4, vcc, v0, 4                       // coord0.1: coord0 += d0*sg0*VW + vc0
v_cmp_lt_u32 s[64:65], v4, s[sgprSizeI]            // coord0 < size0
v_cmp_lt_u32 s[68:69], v1, s[sgprSizeJ]            // coord1 < size1
s_and_b64 s[68:69], s[64:65], s[68:69]             // in0 && in1
_v_add_lshl_u32 v86, v3, v4, 0x2                   // scaleToBpe: accumulate d0 lower and *= bpe into Cin addr
v_cndmask_b32 v86, -1, v86, s[68:69]               // LDD clip if OOB. offset
/* (d1,vc1,d0,vc0)=(0,1,0,8) */
_v_add_co_u32 v4, vcc, v0, 8                       // coord0.1: coord0 += d0*sg0*VW + vc0
v_cmp_lt_u32 s[64:65], v4, s[sgprSizeI]            // coord0 < size0
v_cmp_lt_u32 s[68:69], v1, s[sgprSizeJ]            // coord1 < size1
s_and_b64 s[68:69], s[64:65], s[68:69]             // in0 && in1
_v_add_lshl_u32 v87, v3, v4, 0x2                   // scaleToBpe: accumulate d0 lower and *= bpe into Cin addr
v_cndmask_b32 v87, -1, v87, s[68:69]               // LDD clip if OOB. offset
/* (d1,vc1,d0,vc0)=(0,1,0,12) */
_v_add_co_u32 v4, vcc, v0, 12                      // coord0.1: coord0 += d0*sg0*VW + vc0
v_cmp_lt_u32 s[64:65], v4, s[sgprSizeI]            // coord0 < size0
v_cmp_lt_u32 s[68:69], v1, s[sgprSizeJ]            // coord1 < size1
s_and_b64 s[68:69], s[64:65], s[68:69]             // in0 && in1
_v_add_lshl_u32 v104, v3, v4, 0x2                  // scaleToBpe: accumulate d0 lower and *= bpe into Cin addr
v_cndmask_b32 v104, -1, v104, s[68:69]             // LDD clip if OOB. offset
/* (d1,vc1,d0,vc0)=(0,1,1,0) */
_v_add_co_u32 v4, vcc, v0, 32                      // coord0.1: coord0 += d0*sg0*VW + vc0
v_cmp_lt_u32 s[64:65], v4, s[sgprSizeI]            // coord0 < size0
v_cmp_lt_u32 s[68:69], v1, s[sgprSizeJ]            // coord1 < size1
s_and_b64 s[68:69], s[64:65], s[68:69]             // in0 && in1
_v_add_lshl_u32 v105, v3, v4, 0x2                  // scaleToBpe: accumulate d0 lower and *= bpe into Cin addr
v_cndmask_b32 v105, -1, v105, s[68:69]             // LDD clip if OOB. offset
	;; [unrolled: 7-line block ×6, first 2 shown]
/* (d1,vc1,d0,vc0)=(0,1,2,4) */
s_mov_b32 s64, 68                                  // coordOffset0 d0=2 vc0=4
_v_add_co_u32 v4, vcc, v0, s64                     // coord0.2: coord0 += d0*sg0*VW + vc0
v_cmp_lt_u32 s[64:65], v4, s[sgprSizeI]            // coord0 < size0
v_cmp_lt_u32 s[68:69], v1, s[sgprSizeJ]            // coord1 < size1
s_and_b64 s[68:69], s[64:65], s[68:69]             // in0 && in1
_v_add_lshl_u32 v126, v3, v4, 0x2                  // scaleToBpe: accumulate d0 lower and *= bpe into Cin addr
v_cndmask_b32 v126, -1, v126, s[68:69]             // LDD clip if OOB. offset
/* (d1,vc1,d0,vc0)=(0,1,2,8) */
s_mov_b32 s64, 72                                  // coordOffset0 d0=2 vc0=8
_v_add_co_u32 v4, vcc, v0, s64                     // coord0.2: coord0 += d0*sg0*VW + vc0
v_cmp_lt_u32 s[64:65], v4, s[sgprSizeI]            // coord0 < size0
v_cmp_lt_u32 s[68:69], v1, s[sgprSizeJ]            // coord1 < size1
s_and_b64 s[68:69], s[64:65], s[68:69]             // in0 && in1
_v_add_lshl_u32 v127, v3, v4, 0x2                  // scaleToBpe: accumulate d0 lower and *= bpe into Cin addr
v_cndmask_b32 v127, -1, v127, s[68:69]             // LDD clip if OOB. offset
	;; [unrolled: 8-line block ×4, first 2 shown]
/* (d1,vc1,d0,vc0)=(0,1,3,4) */
s_mov_b32 s64, 100                                 // coordOffset0 d0=3 vc0=4
_v_add_co_u32 v4, vcc, v0, s64                     // coord0.2: coord0 += d0*sg0*VW + vc0
v_cmp_lt_u32 s[64:65], v4, s[sgprSizeI]            // coord0 < size0
v_cmp_lt_u32 s[68:69], v1, s[sgprSizeJ]            // coord1 < size1
s_and_b64 s[68:69], s[64:65], s[68:69]             // in0 && in1
_v_add_lshl_u32 v146, v3, v4, 0x2                  // scaleToBpe: accumulate d0 lower and *= bpe into Cin addr
v_cndmask_b32 v146, -1, v146, s[68:69]             // LDD clip if OOB. offset
/* (d1,vc1,d0,vc0)=(0,1,3,8) */
s_mov_b32 s64, 104                                 // coordOffset0 d0=3 vc0=8
_v_add_co_u32 v4, vcc, v0, s64                     // coord0.2: coord0 += d0*sg0*VW + vc0
v_cmp_lt_u32 s[64:65], v4, s[sgprSizeI]            // coord0 < size0
v_cmp_lt_u32 s[68:69], v1, s[sgprSizeJ]            // coord1 < size1
s_and_b64 s[68:69], s[64:65], s[68:69]             // in0 && in1
_v_add_lshl_u32 v147, v3, v4, 0x2                  // scaleToBpe: accumulate d0 lower and *= bpe into Cin addr
v_cndmask_b32 v147, -1, v147, s[68:69]             // LDD clip if OOB. offset
	;; [unrolled: 8-line block ×3, first 2 shown]
/* (d1,vc1,d0,vc0)=(0,2,0,0) */
_v_add_co_u32 v1, vcc, v1, 1                       // coord1.1: coord1Vgpr += d1*sg1*VW + vc1

/* Fix for UseInitialStridesCD, emitAddressSetupCode */
_v_add_u32 v2, v2, s[sgprStrideC1J]                // ROWINC- Move cinRowPtr to next row
_v_add_u32 v3, v3, s[sgprStrideD1J]                // Move coutRowPtr to next row
v_cmp_lt_u32 s[64:65], v0, s[sgprSizeI]            // coord0 < size0
v_cmp_lt_u32 s[68:69], v1, s[sgprSizeJ]            // coord1 < size1
s_and_b64 s[68:69], s[64:65], s[68:69]             // in0 && in1
_v_add_lshl_u32 v165, v3, v0, 0x2                  // scaleToBpe: accumulate d0 lower and *= bpe into Cin addr
v_cndmask_b32 v165, -1, v165, s[68:69]             // LDD clip if OOB. offset
/* (d1,vc1,d0,vc0)=(0,2,0,4) */
_v_add_co_u32 v4, vcc, v0, 4                       // coord0.1: coord0 += d0*sg0*VW + vc0
v_cmp_lt_u32 s[64:65], v4, s[sgprSizeI]            // coord0 < size0
v_cmp_lt_u32 s[68:69], v1, s[sgprSizeJ]            // coord1 < size1
s_and_b64 s[68:69], s[64:65], s[68:69]             // in0 && in1
_v_add_lshl_u32 v166, v3, v4, 0x2                  // scaleToBpe: accumulate d0 lower and *= bpe into Cin addr
v_cndmask_b32 v166, -1, v166, s[68:69]             // LDD clip if OOB. offset
/* (d1,vc1,d0,vc0)=(0,2,0,8) */
_v_add_co_u32 v4, vcc, v0, 8                       // coord0.1: coord0 += d0*sg0*VW + vc0
v_cmp_lt_u32 s[64:65], v4, s[sgprSizeI]            // coord0 < size0
v_cmp_lt_u32 s[68:69], v1, s[sgprSizeJ]            // coord1 < size1
s_and_b64 s[68:69], s[64:65], s[68:69]             // in0 && in1
_v_add_lshl_u32 v167, v3, v4, 0x2                  // scaleToBpe: accumulate d0 lower and *= bpe into Cin addr
v_cndmask_b32 v167, -1, v167, s[68:69]             // LDD clip if OOB. offset
/* (d1,vc1,d0,vc0)=(0,2,0,12) */
_v_add_co_u32 v4, vcc, v0, 12                      // coord0.1: coord0 += d0*sg0*VW + vc0
v_cmp_lt_u32 s[64:65], v4, s[sgprSizeI]            // coord0 < size0
v_cmp_lt_u32 s[68:69], v1, s[sgprSizeJ]            // coord1 < size1
s_and_b64 s[68:69], s[64:65], s[68:69]             // in0 && in1
_v_add_lshl_u32 v184, v3, v4, 0x2                  // scaleToBpe: accumulate d0 lower and *= bpe into Cin addr
v_cndmask_b32 v184, -1, v184, s[68:69]             // LDD clip if OOB. offset
/* (d1,vc1,d0,vc0)=(0,2,1,0) */
_v_add_co_u32 v4, vcc, v0, 32                      // coord0.1: coord0 += d0*sg0*VW + vc0
	;; [unrolled: 7-line block ×6, first 2 shown]
v_cmp_lt_u32 s[64:65], v4, s[sgprSizeI]            // coord0 < size0
v_cmp_lt_u32 s[68:69], v1, s[sgprSizeJ]            // coord1 < size1
s_and_b64 s[68:69], s[64:65], s[68:69]             // in0 && in1
_v_add_lshl_u32 v205, v3, v4, 0x2                  // scaleToBpe: accumulate d0 lower and *= bpe into Cin addr
v_cndmask_b32 v205, -1, v205, s[68:69]             // LDD clip if OOB. offset
/* (d1,vc1,d0,vc0)=(0,2,2,4) */
s_mov_b32 s64, 68                                  // coordOffset0 d0=2 vc0=4
_v_add_co_u32 v4, vcc, v0, s64                     // coord0.2: coord0 += d0*sg0*VW + vc0
v_cmp_lt_u32 s[64:65], v4, s[sgprSizeI]            // coord0 < size0
v_cmp_lt_u32 s[68:69], v1, s[sgprSizeJ]            // coord1 < size1
s_and_b64 s[68:69], s[64:65], s[68:69]             // in0 && in1
_v_add_lshl_u32 v206, v3, v4, 0x2                  // scaleToBpe: accumulate d0 lower and *= bpe into Cin addr
v_cndmask_b32 v206, -1, v206, s[68:69]             // LDD clip if OOB. offset
/* (d1,vc1,d0,vc0)=(0,2,2,8) */
s_mov_b32 s64, 72                                  // coordOffset0 d0=2 vc0=8
_v_add_co_u32 v4, vcc, v0, s64                     // coord0.2: coord0 += d0*sg0*VW + vc0
	;; [unrolled: 8-line block ×4, first 2 shown]
v_cmp_lt_u32 s[64:65], v4, s[sgprSizeI]            // coord0 < size0
v_cmp_lt_u32 s[68:69], v1, s[sgprSizeJ]            // coord1 < size1
s_and_b64 s[68:69], s[64:65], s[68:69]             // in0 && in1
_v_add_lshl_u32 v225, v3, v4, 0x2                  // scaleToBpe: accumulate d0 lower and *= bpe into Cin addr
v_cndmask_b32 v225, -1, v225, s[68:69]             // LDD clip if OOB. offset
/* (d1,vc1,d0,vc0)=(0,2,3,4) */
s_mov_b32 s64, 100                                 // coordOffset0 d0=3 vc0=4
_v_add_co_u32 v4, vcc, v0, s64                     // coord0.2: coord0 += d0*sg0*VW + vc0
v_cmp_lt_u32 s[64:65], v4, s[sgprSizeI]            // coord0 < size0
v_cmp_lt_u32 s[68:69], v1, s[sgprSizeJ]            // coord1 < size1
s_and_b64 s[68:69], s[64:65], s[68:69]             // in0 && in1
_v_add_lshl_u32 v226, v3, v4, 0x2                  // scaleToBpe: accumulate d0 lower and *= bpe into Cin addr
v_cndmask_b32 v226, -1, v226, s[68:69]             // LDD clip if OOB. offset
/* (d1,vc1,d0,vc0)=(0,2,3,8) */
s_mov_b32 s64, 104                                 // coordOffset0 d0=3 vc0=8
_v_add_co_u32 v4, vcc, v0, s64                     // coord0.2: coord0 += d0*sg0*VW + vc0
	;; [unrolled: 8-line block ×3, first 2 shown]
v_cmp_lt_u32 s[64:65], v4, s[sgprSizeI]            // coord0 < size0
v_cmp_lt_u32 s[68:69], v1, s[sgprSizeJ]            // coord1 < size1
s_and_b64 s[68:69], s[64:65], s[68:69]             // in0 && in1
_v_add_lshl_u32 v244, v3, v4, 0x2                  // scaleToBpe: accumulate d0 lower and *= bpe into Cin addr
v_cndmask_b32 v244, -1, v244, s[68:69]             // LDD clip if OOB. offset
v_accvgpr_read_b32 v[vgprValuC+8], acc0 // copy acc to vreg[0]
v_accvgpr_read_b32 v[vgprValuC+9], acc16 // copy acc to vreg[1]
v_accvgpr_read_b32 v[vgprValuC+10], acc32 // copy acc to vreg[2]
v_accvgpr_read_b32 v[vgprValuC+11], acc48 // copy acc to vreg[3]
v_accvgpr_read_b32 v[vgprValuC+12], acc1 // copy acc to vreg[4]
v_accvgpr_read_b32 v[vgprValuC+13], acc17 // copy acc to vreg[5]
v_accvgpr_read_b32 v[vgprValuC+14], acc33 // copy acc to vreg[6]
v_accvgpr_read_b32 v[vgprValuC+15], acc49 // copy acc to vreg[7]
v_accvgpr_read_b32 v[vgprValuC+20], acc2 // copy acc to vreg[8]
v_accvgpr_read_b32 v[vgprValuC+21], acc18 // copy acc to vreg[9]
v_accvgpr_read_b32 v[vgprValuC+22], acc34 // copy acc to vreg[10]
v_accvgpr_read_b32 v[vgprValuC+23], acc50 // copy acc to vreg[11]
v_accvgpr_read_b32 v[vgprValuC+24], acc3 // copy acc to vreg[12]
v_accvgpr_read_b32 v[vgprValuC+25], acc19 // copy acc to vreg[13]
v_accvgpr_read_b32 v[vgprValuC+26], acc35 // copy acc to vreg[14]
v_accvgpr_read_b32 v[vgprValuC+27], acc51 // copy acc to vreg[15]
v_accvgpr_read_b32 v[vgprValuC+28], acc4 // copy acc to vreg[16]
v_accvgpr_read_b32 v[vgprValuC+29], acc20 // copy acc to vreg[17]
v_accvgpr_read_b32 v[vgprValuC+30], acc36 // copy acc to vreg[18]
v_accvgpr_read_b32 v[vgprValuC+31], acc52 // copy acc to vreg[19]
v_accvgpr_read_b32 v[vgprValuC+32], acc5 // copy acc to vreg[20]
v_accvgpr_read_b32 v[vgprValuC+33], acc21 // copy acc to vreg[21]
v_accvgpr_read_b32 v[vgprValuC+34], acc37 // copy acc to vreg[22]
v_accvgpr_read_b32 v[vgprValuC+35], acc53 // copy acc to vreg[23]
v_accvgpr_read_b32 v[vgprValuC+44], acc6 // copy acc to vreg[24]
v_accvgpr_read_b32 v[vgprValuC+45], acc22 // copy acc to vreg[25]
v_accvgpr_read_b32 v[vgprValuC+46], acc38 // copy acc to vreg[26]
v_accvgpr_read_b32 v[vgprValuC+47], acc54 // copy acc to vreg[27]
v_accvgpr_read_b32 v[vgprValuC+48], acc7 // copy acc to vreg[28]
v_accvgpr_read_b32 v[vgprValuC+49], acc23 // copy acc to vreg[29]
v_accvgpr_read_b32 v[vgprValuC+50], acc39 // copy acc to vreg[30]
v_accvgpr_read_b32 v[vgprValuC+51], acc55 // copy acc to vreg[31]
v_accvgpr_read_b32 v[vgprValuC+52], acc8 // copy acc to vreg[32]
v_accvgpr_read_b32 v[vgprValuC+53], acc24 // copy acc to vreg[33]
v_accvgpr_read_b32 v[vgprValuC+54], acc40 // copy acc to vreg[34]
v_accvgpr_read_b32 v[vgprValuC+55], acc56 // copy acc to vreg[35]
v_accvgpr_read_b32 v[vgprValuC+56], acc9 // copy acc to vreg[36]
v_accvgpr_read_b32 v[vgprValuC+57], acc25 // copy acc to vreg[37]
v_accvgpr_read_b32 v[vgprValuC+58], acc41 // copy acc to vreg[38]
v_accvgpr_read_b32 v[vgprValuC+59], acc57 // copy acc to vreg[39]
v_accvgpr_read_b32 v[vgprValuC+60], acc10 // copy acc to vreg[40]
v_accvgpr_read_b32 v[vgprValuC+61], acc26 // copy acc to vreg[41]
v_accvgpr_read_b32 v[vgprValuC+62], acc42 // copy acc to vreg[42]
v_accvgpr_read_b32 v[vgprValuC+63], acc58 // copy acc to vreg[43]
v_accvgpr_read_b32 v[vgprValuC+68], acc11 // copy acc to vreg[44]
v_accvgpr_read_b32 v[vgprValuC+69], acc27 // copy acc to vreg[45]
v_accvgpr_read_b32 v[vgprValuC+70], acc43 // copy acc to vreg[46]
v_accvgpr_read_b32 v[vgprValuC+71], acc59 // copy acc to vreg[47]
v_accvgpr_read_b32 v[vgprValuC+72], acc12 // copy acc to vreg[48]
v_accvgpr_read_b32 v[vgprValuC+73], acc28 // copy acc to vreg[49]
v_accvgpr_read_b32 v[vgprValuC+74], acc44 // copy acc to vreg[50]
v_accvgpr_read_b32 v[vgprValuC+75], acc60 // copy acc to vreg[51]
v_accvgpr_read_b32 v[vgprValuC+76], acc13 // copy acc to vreg[52]
v_accvgpr_read_b32 v[vgprValuC+77], acc29 // copy acc to vreg[53]
v_accvgpr_read_b32 v[vgprValuC+78], acc45 // copy acc to vreg[54]
v_accvgpr_read_b32 v[vgprValuC+79], acc61 // copy acc to vreg[55]
v_accvgpr_read_b32 v[vgprValuC+80], acc14 // copy acc to vreg[56]
v_accvgpr_read_b32 v[vgprValuC+81], acc30 // copy acc to vreg[57]
v_accvgpr_read_b32 v[vgprValuC+82], acc46 // copy acc to vreg[58]
v_accvgpr_read_b32 v[vgprValuC+83], acc62 // copy acc to vreg[59]
v_accvgpr_read_b32 v[vgprValuC+88], acc15 // copy acc to vreg[60]
v_accvgpr_read_b32 v[vgprValuC+89], acc31 // copy acc to vreg[61]
v_accvgpr_read_b32 v[vgprValuC+90], acc47 // copy acc to vreg[62]
v_accvgpr_read_b32 v[vgprValuC+91], acc63 // copy acc to vreg[63]
v_accvgpr_read_b32 v[vgprValuC+92], acc64 // copy acc to vreg[64]
v_accvgpr_read_b32 v[vgprValuC+93], acc80 // copy acc to vreg[65]
v_accvgpr_read_b32 v[vgprValuC+94], acc96 // copy acc to vreg[66]
v_accvgpr_read_b32 v[vgprValuC+95], acc112 // copy acc to vreg[67]
v_accvgpr_read_b32 v[vgprValuC+96], acc65 // copy acc to vreg[68]
v_accvgpr_read_b32 v[vgprValuC+97], acc81 // copy acc to vreg[69]
v_accvgpr_read_b32 v[vgprValuC+98], acc97 // copy acc to vreg[70]
v_accvgpr_read_b32 v[vgprValuC+99], acc113 // copy acc to vreg[71]
v_accvgpr_read_b32 v[vgprValuC+100], acc66 // copy acc to vreg[72]
v_accvgpr_read_b32 v[vgprValuC+101], acc82 // copy acc to vreg[73]
v_accvgpr_read_b32 v[vgprValuC+102], acc98 // copy acc to vreg[74]
v_accvgpr_read_b32 v[vgprValuC+103], acc114 // copy acc to vreg[75]
v_accvgpr_read_b32 v[vgprValuC+108], acc67 // copy acc to vreg[76]
v_accvgpr_read_b32 v[vgprValuC+109], acc83 // copy acc to vreg[77]
v_accvgpr_read_b32 v[vgprValuC+110], acc99 // copy acc to vreg[78]
v_accvgpr_read_b32 v[vgprValuC+111], acc115 // copy acc to vreg[79]
v_accvgpr_read_b32 v[vgprValuC+112], acc68 // copy acc to vreg[80]
v_accvgpr_read_b32 v[vgprValuC+113], acc84 // copy acc to vreg[81]
v_accvgpr_read_b32 v[vgprValuC+114], acc100 // copy acc to vreg[82]
v_accvgpr_read_b32 v[vgprValuC+115], acc116 // copy acc to vreg[83]
v_accvgpr_read_b32 v[vgprValuC+116], acc69 // copy acc to vreg[84]
v_accvgpr_read_b32 v[vgprValuC+117], acc85 // copy acc to vreg[85]
v_accvgpr_read_b32 v[vgprValuC+118], acc101 // copy acc to vreg[86]
v_accvgpr_read_b32 v[vgprValuC+119], acc117 // copy acc to vreg[87]
v_accvgpr_read_b32 v[vgprValuC+120], acc70 // copy acc to vreg[88]
v_accvgpr_read_b32 v[vgprValuC+121], acc86 // copy acc to vreg[89]
v_accvgpr_read_b32 v[vgprValuC+122], acc102 // copy acc to vreg[90]
v_accvgpr_read_b32 v[vgprValuC+123], acc118 // copy acc to vreg[91]
v_accvgpr_read_b32 v[vgprValuC+128], acc71 // copy acc to vreg[92]
v_accvgpr_read_b32 v[vgprValuC+129], acc87 // copy acc to vreg[93]
v_accvgpr_read_b32 v[vgprValuC+130], acc103 // copy acc to vreg[94]
v_accvgpr_read_b32 v[vgprValuC+131], acc119 // copy acc to vreg[95]
v_accvgpr_read_b32 v[vgprValuC+132], acc72 // copy acc to vreg[96]
v_accvgpr_read_b32 v[vgprValuC+133], acc88 // copy acc to vreg[97]
v_accvgpr_read_b32 v[vgprValuC+134], acc104 // copy acc to vreg[98]
v_accvgpr_read_b32 v[vgprValuC+135], acc120 // copy acc to vreg[99]
v_accvgpr_read_b32 v[vgprValuC+136], acc73 // copy acc to vreg[100]
v_accvgpr_read_b32 v[vgprValuC+137], acc89 // copy acc to vreg[101]
v_accvgpr_read_b32 v[vgprValuC+138], acc105 // copy acc to vreg[102]
v_accvgpr_read_b32 v[vgprValuC+139], acc121 // copy acc to vreg[103]
v_accvgpr_read_b32 v[vgprValuC+140], acc74 // copy acc to vreg[104]
v_accvgpr_read_b32 v[vgprValuC+141], acc90 // copy acc to vreg[105]
v_accvgpr_read_b32 v[vgprValuC+142], acc106 // copy acc to vreg[106]
v_accvgpr_read_b32 v[vgprValuC+143], acc122 // copy acc to vreg[107]
v_accvgpr_read_b32 v[vgprValuC+148], acc75 // copy acc to vreg[108]
v_accvgpr_read_b32 v[vgprValuC+149], acc91 // copy acc to vreg[109]
v_accvgpr_read_b32 v[vgprValuC+150], acc107 // copy acc to vreg[110]
v_accvgpr_read_b32 v[vgprValuC+151], acc123 // copy acc to vreg[111]
v_accvgpr_read_b32 v[vgprValuC+152], acc76 // copy acc to vreg[112]
v_accvgpr_read_b32 v[vgprValuC+153], acc92 // copy acc to vreg[113]
v_accvgpr_read_b32 v[vgprValuC+154], acc108 // copy acc to vreg[114]
v_accvgpr_read_b32 v[vgprValuC+155], acc124 // copy acc to vreg[115]
v_accvgpr_read_b32 v[vgprValuC+156], acc77 // copy acc to vreg[116]
v_accvgpr_read_b32 v[vgprValuC+157], acc93 // copy acc to vreg[117]
v_accvgpr_read_b32 v[vgprValuC+158], acc109 // copy acc to vreg[118]
v_accvgpr_read_b32 v[vgprValuC+159], acc125 // copy acc to vreg[119]
v_accvgpr_read_b32 v[vgprValuC+160], acc78 // copy acc to vreg[120]
v_accvgpr_read_b32 v[vgprValuC+161], acc94 // copy acc to vreg[121]
v_accvgpr_read_b32 v[vgprValuC+162], acc110 // copy acc to vreg[122]
v_accvgpr_read_b32 v[vgprValuC+163], acc126 // copy acc to vreg[123]
v_accvgpr_read_b32 v[vgprValuC+168], acc79 // copy acc to vreg[124]
v_accvgpr_read_b32 v[vgprValuC+169], acc95 // copy acc to vreg[125]
v_accvgpr_read_b32 v[vgprValuC+170], acc111 // copy acc to vreg[126]
v_accvgpr_read_b32 v[vgprValuC+171], acc127 // copy acc to vreg[127]
v_accvgpr_read_b32 v[vgprValuC+172], acc128 // copy acc to vreg[128]
v_accvgpr_read_b32 v[vgprValuC+173], acc144 // copy acc to vreg[129]
v_accvgpr_read_b32 v[vgprValuC+174], acc160 // copy acc to vreg[130]
v_accvgpr_read_b32 v[vgprValuC+175], acc176 // copy acc to vreg[131]
v_accvgpr_read_b32 v[vgprValuC+176], acc129 // copy acc to vreg[132]
v_accvgpr_read_b32 v[vgprValuC+177], acc145 // copy acc to vreg[133]
v_accvgpr_read_b32 v[vgprValuC+178], acc161 // copy acc to vreg[134]
v_accvgpr_read_b32 v[vgprValuC+179], acc177 // copy acc to vreg[135]
v_accvgpr_read_b32 v[vgprValuC+180], acc130 // copy acc to vreg[136]
v_accvgpr_read_b32 v[vgprValuC+181], acc146 // copy acc to vreg[137]
v_accvgpr_read_b32 v[vgprValuC+182], acc162 // copy acc to vreg[138]
v_accvgpr_read_b32 v[vgprValuC+183], acc178 // copy acc to vreg[139]
v_accvgpr_read_b32 v[vgprValuC+188], acc131 // copy acc to vreg[140]
v_accvgpr_read_b32 v[vgprValuC+189], acc147 // copy acc to vreg[141]
v_accvgpr_read_b32 v[vgprValuC+190], acc163 // copy acc to vreg[142]
v_accvgpr_read_b32 v[vgprValuC+191], acc179 // copy acc to vreg[143]
v_accvgpr_read_b32 v[vgprValuC+192], acc132 // copy acc to vreg[144]
v_accvgpr_read_b32 v[vgprValuC+193], acc148 // copy acc to vreg[145]
v_accvgpr_read_b32 v[vgprValuC+194], acc164 // copy acc to vreg[146]
v_accvgpr_read_b32 v[vgprValuC+195], acc180 // copy acc to vreg[147]
v_accvgpr_read_b32 v[vgprValuC+196], acc133 // copy acc to vreg[148]
v_accvgpr_read_b32 v[vgprValuC+197], acc149 // copy acc to vreg[149]
v_accvgpr_read_b32 v[vgprValuC+198], acc165 // copy acc to vreg[150]
v_accvgpr_read_b32 v[vgprValuC+199], acc181 // copy acc to vreg[151]
v_accvgpr_read_b32 v[vgprValuC+200], acc134 // copy acc to vreg[152]
v_accvgpr_read_b32 v[vgprValuC+201], acc150 // copy acc to vreg[153]
v_accvgpr_read_b32 v[vgprValuC+202], acc166 // copy acc to vreg[154]
v_accvgpr_read_b32 v[vgprValuC+203], acc182 // copy acc to vreg[155]
v_accvgpr_read_b32 v[vgprValuC+208], acc135 // copy acc to vreg[156]
v_accvgpr_read_b32 v[vgprValuC+209], acc151 // copy acc to vreg[157]
v_accvgpr_read_b32 v[vgprValuC+210], acc167 // copy acc to vreg[158]
v_accvgpr_read_b32 v[vgprValuC+211], acc183 // copy acc to vreg[159]
v_accvgpr_read_b32 v[vgprValuC+212], acc136 // copy acc to vreg[160]
v_accvgpr_read_b32 v[vgprValuC+213], acc152 // copy acc to vreg[161]
v_accvgpr_read_b32 v[vgprValuC+214], acc168 // copy acc to vreg[162]
v_accvgpr_read_b32 v[vgprValuC+215], acc184 // copy acc to vreg[163]
v_accvgpr_read_b32 v[vgprValuC+216], acc137 // copy acc to vreg[164]
v_accvgpr_read_b32 v[vgprValuC+217], acc153 // copy acc to vreg[165]
v_accvgpr_read_b32 v[vgprValuC+218], acc169 // copy acc to vreg[166]
v_accvgpr_read_b32 v[vgprValuC+219], acc185 // copy acc to vreg[167]
v_accvgpr_read_b32 v[vgprValuC+220], acc138 // copy acc to vreg[168]
v_accvgpr_read_b32 v[vgprValuC+221], acc154 // copy acc to vreg[169]
v_accvgpr_read_b32 v[vgprValuC+222], acc170 // copy acc to vreg[170]
v_accvgpr_read_b32 v[vgprValuC+223], acc186 // copy acc to vreg[171]
v_accvgpr_read_b32 v[vgprValuC+228], acc139 // copy acc to vreg[172]
v_accvgpr_read_b32 v[vgprValuC+229], acc155 // copy acc to vreg[173]
v_accvgpr_read_b32 v[vgprValuC+230], acc171 // copy acc to vreg[174]
v_accvgpr_read_b32 v[vgprValuC+231], acc187 // copy acc to vreg[175]
v_accvgpr_read_b32 v[vgprValuC+232], acc140 // copy acc to vreg[176]
v_accvgpr_read_b32 v[vgprValuC+233], acc156 // copy acc to vreg[177]
v_accvgpr_read_b32 v[vgprValuC+234], acc172 // copy acc to vreg[178]
v_accvgpr_read_b32 v[vgprValuC+235], acc188 // copy acc to vreg[179]
v_accvgpr_read_b32 v[vgprValuC+236], acc141 // copy acc to vreg[180]
v_accvgpr_read_b32 v[vgprValuC+237], acc157 // copy acc to vreg[181]
v_accvgpr_read_b32 v[vgprValuC+238], acc173 // copy acc to vreg[182]
v_accvgpr_read_b32 v[vgprValuC+239], acc189 // copy acc to vreg[183]
v_accvgpr_read_b32 v[vgprValuC+240], acc142 // copy acc to vreg[184]
v_accvgpr_read_b32 v[vgprValuC+241], acc158 // copy acc to vreg[185]
v_accvgpr_read_b32 v[vgprValuC+242], acc174 // copy acc to vreg[186]
v_accvgpr_read_b32 v[vgprValuC+243], acc190 // copy acc to vreg[187]
v_accvgpr_read_b32 v[vgprValuC+248], acc143 // copy acc to vreg[188]
v_accvgpr_read_b32 v[vgprValuC+249], acc159 // copy acc to vreg[189]
v_accvgpr_read_b32 v[vgprValuC+250], acc175 // copy acc to vreg[190]
v_accvgpr_read_b32 v[vgprValuC+251], acc191 // copy acc to vreg[191]
s_nop 1                                            // 2 wait states required before reading vgpr

/* rC *= alpha batchElements=[(0, 0, 0, 0), (0, 0, 0, 4), (0, 0, 0, 8), (0, 0, 0, 12), (0, 1, 0, 0), (0, 1, 0, 4), (0, 1, 0, 8), (0, 1, 0, 12), (0, 2, 0, 0), (0, 2, 0, 4), (0, 2, 0, 8), (0, 2, 0, 12), (0, 3, 0, 0), (0, 3, 0, 4), (0, 3, 0, 8), (0, 3, 0, 12), (0, 0, 1, 0), (0, 0, 1, 4), (0, 0, 1, 8), (0, 0, 1, 12), (0, 1, 1, 0), (0, 1, 1, 4), (0, 1, 1, 8), (0, 1, 1, 12), (0, 2, 1, 0), (0, 2, 1, 4), (0, 2, 1, 8), (0, 2, 1, 12), (0, 3, 1, 0), (0, 3, 1, 4), (0, 3, 1, 8), (0, 3, 1, 12), (0, 0, 2, 0), (0, 0, 2, 4), (0, 0, 2, 8), (0, 0, 2, 12), (0, 1, 2, 0), (0, 1, 2, 4), (0, 1, 2, 8), (0, 1, 2, 12), (0, 2, 2, 0), (0, 2, 2, 4), (0, 2, 2, 8), (0, 2, 2, 12), (0, 3, 2, 0), (0, 3, 2, 4), (0, 3, 2, 8), (0, 3, 2, 12)] */
v_mul_lo_u32 v[vgprValuC+8], s[sgprAlpha], v[vgprValuC+8] // *= alpha
v_mul_lo_u32 v[vgprValuC+9], s[sgprAlpha], v[vgprValuC+9] // *= alpha
	;; [unrolled: 1-line block ×192, first 2 shown]

/* apply mask, calc new C and issue writes */
_buffer_store_b128 v[8:11], v6, s[sgprSrdD:sgprSrdD+3], 0, offen, offset:0 // store D
_buffer_store_b128 v[12:15], v7, s[sgprSrdD:sgprSrdD+3], 0, offen, offset:0 // store D
	;; [unrolled: 1-line block ×48, first 2 shown]
s_nop 0                                            // 1 wait state required when next inst writes vgprs held by previous dwordx4 store inst
/* optSingleColVgpr=0 optSharedColVgpr=0 optSGPRUsage=BufferLoad_Edge_Mask optSrdIncForRow=0 */

/******************************************/
/* Global Write Alpha Edge Batch #1 (d1,d0,vc1,vc0) = */
/*    (0,0,3,0:vw4); (0,0,3,4:vw4); (0,0,3,8:vw4); (0,0,3,12:vw4); (0,1,3,0:vw4); (0,1,3,4:vw4); (0,1,3,8:vw4); (0,1,3,12:vw4); (0,2,3,0:vw4); (0,2,3,4:vw4); (0,2,3,8:vw4); (0,2,3,12:vw4); (0,3,3,0:vw4); (0,3,3,4:vw4); (0,3,3,8:vw4); (0,3,3,12:vw4) */
/******************************************/

/* calc coords, apply mask, and issue loads (if necessary) */
/* (d1,vc1,d0,vc0)=(0,3,0,0) */
_v_add_co_u32 v1, vcc, v1, 1                       // coord1.1: coord1Vgpr += d1*sg1*VW + vc1

/* Fix for UseInitialStridesCD, emitAddressSetupCode */
_v_add_u32 v2, v2, s[sgprStrideC1J]                // ROWINC- Move cinRowPtr to next row
_v_add_u32 v3, v3, s[sgprStrideD1J]                // Move coutRowPtr to next row
v_cmp_lt_u32 s[64:65], v0, s[sgprSizeI]            // coord0 < size0
v_cmp_lt_u32 s[68:69], v1, s[sgprSizeJ]            // coord1 < size1
s_and_b64 s[68:69], s[64:65], s[68:69]             // in0 && in1
_v_add_lshl_u32 v6, v3, v0, 0x2                    // scaleToBpe: accumulate d0 lower and *= bpe into Cin addr
v_cndmask_b32 v6, -1, v6, s[68:69]                 // LDD clip if OOB. offset
/* (d1,vc1,d0,vc0)=(0,3,0,4) */
_v_add_co_u32 v4, vcc, v0, 4                       // coord0.1: coord0 += d0*sg0*VW + vc0
v_cmp_lt_u32 s[64:65], v4, s[sgprSizeI]            // coord0 < size0
v_cmp_lt_u32 s[68:69], v1, s[sgprSizeJ]            // coord1 < size1
s_and_b64 s[68:69], s[64:65], s[68:69]             // in0 && in1
_v_add_lshl_u32 v7, v3, v4, 0x2                    // scaleToBpe: accumulate d0 lower and *= bpe into Cin addr
v_cndmask_b32 v7, -1, v7, s[68:69]                 // LDD clip if OOB. offset
/* (d1,vc1,d0,vc0)=(0,3,0,8) */
_v_add_co_u32 v4, vcc, v0, 8                       // coord0.1: coord0 += d0*sg0*VW + vc0
v_cmp_lt_u32 s[64:65], v4, s[sgprSizeI]            // coord0 < size0
v_cmp_lt_u32 s[68:69], v1, s[sgprSizeJ]            // coord1 < size1
s_and_b64 s[68:69], s[64:65], s[68:69]             // in0 && in1
_v_add_lshl_u32 v16, v3, v4, 0x2                   // scaleToBpe: accumulate d0 lower and *= bpe into Cin addr
v_cndmask_b32 v16, -1, v16, s[68:69]               // LDD clip if OOB. offset
/* (d1,vc1,d0,vc0)=(0,3,0,12) */
_v_add_co_u32 v4, vcc, v0, 12                      // coord0.1: coord0 += d0*sg0*VW + vc0
v_cmp_lt_u32 s[64:65], v4, s[sgprSizeI]            // coord0 < size0
v_cmp_lt_u32 s[68:69], v1, s[sgprSizeJ]            // coord1 < size1
s_and_b64 s[68:69], s[64:65], s[68:69]             // in0 && in1
_v_add_lshl_u32 v17, v3, v4, 0x2                   // scaleToBpe: accumulate d0 lower and *= bpe into Cin addr
v_cndmask_b32 v17, -1, v17, s[68:69]               // LDD clip if OOB. offset
/* (d1,vc1,d0,vc0)=(0,3,1,0) */
_v_add_co_u32 v4, vcc, v0, 32                      // coord0.1: coord0 += d0*sg0*VW + vc0
	;; [unrolled: 7-line block ×6, first 2 shown]
v_cmp_lt_u32 s[64:65], v4, s[sgprSizeI]            // coord0 < size0
v_cmp_lt_u32 s[68:69], v1, s[sgprSizeJ]            // coord1 < size1
s_and_b64 s[68:69], s[64:65], s[68:69]             // in0 && in1
_v_add_lshl_u32 v41, v3, v4, 0x2                   // scaleToBpe: accumulate d0 lower and *= bpe into Cin addr
v_cndmask_b32 v41, -1, v41, s[68:69]               // LDD clip if OOB. offset
/* (d1,vc1,d0,vc0)=(0,3,2,4) */
s_mov_b32 s64, 68                                  // coordOffset0 d0=2 vc0=4
_v_add_co_u32 v4, vcc, v0, s64                     // coord0.2: coord0 += d0*sg0*VW + vc0
v_cmp_lt_u32 s[64:65], v4, s[sgprSizeI]            // coord0 < size0
v_cmp_lt_u32 s[68:69], v1, s[sgprSizeJ]            // coord1 < size1
s_and_b64 s[68:69], s[64:65], s[68:69]             // in0 && in1
_v_add_lshl_u32 v42, v3, v4, 0x2                   // scaleToBpe: accumulate d0 lower and *= bpe into Cin addr
v_cndmask_b32 v42, -1, v42, s[68:69]               // LDD clip if OOB. offset
/* (d1,vc1,d0,vc0)=(0,3,2,8) */
s_mov_b32 s64, 72                                  // coordOffset0 d0=2 vc0=8
_v_add_co_u32 v4, vcc, v0, s64                     // coord0.2: coord0 += d0*sg0*VW + vc0
	;; [unrolled: 8-line block ×4, first 2 shown]
v_cmp_lt_u32 s[64:65], v4, s[sgprSizeI]            // coord0 < size0
v_cmp_lt_u32 s[68:69], v1, s[sgprSizeJ]            // coord1 < size1
s_and_b64 s[68:69], s[64:65], s[68:69]             // in0 && in1
_v_add_lshl_u32 v65, v3, v4, 0x2                   // scaleToBpe: accumulate d0 lower and *= bpe into Cin addr
v_cndmask_b32 v65, -1, v65, s[68:69]               // LDD clip if OOB. offset
/* (d1,vc1,d0,vc0)=(0,3,3,4) */
s_mov_b32 s64, 100                                 // coordOffset0 d0=3 vc0=4
_v_add_co_u32 v4, vcc, v0, s64                     // coord0.2: coord0 += d0*sg0*VW + vc0
v_cmp_lt_u32 s[64:65], v4, s[sgprSizeI]            // coord0 < size0
v_cmp_lt_u32 s[68:69], v1, s[sgprSizeJ]            // coord1 < size1
s_and_b64 s[68:69], s[64:65], s[68:69]             // in0 && in1
_v_add_lshl_u32 v66, v3, v4, 0x2                   // scaleToBpe: accumulate d0 lower and *= bpe into Cin addr
v_cndmask_b32 v66, -1, v66, s[68:69]               // LDD clip if OOB. offset
/* (d1,vc1,d0,vc0)=(0,3,3,8) */
s_mov_b32 s64, 104                                 // coordOffset0 d0=3 vc0=8
_v_add_co_u32 v4, vcc, v0, s64                     // coord0.2: coord0 += d0*sg0*VW + vc0
	;; [unrolled: 8-line block ×3, first 2 shown]
v_cmp_lt_u32 s[64:65], v4, s[sgprSizeI]            // coord0 < size0
v_cmp_lt_u32 s[68:69], v1, s[sgprSizeJ]            // coord1 < size1
s_and_b64 s[68:69], s[64:65], s[68:69]             // in0 && in1
_v_add_lshl_u32 v84, v3, v4, 0x2                   // scaleToBpe: accumulate d0 lower and *= bpe into Cin addr
v_cndmask_b32 v84, -1, v84, s[68:69]               // LDD clip if OOB. offset
v_accvgpr_read_b32 v[vgprValuC+8], acc192 // copy acc to vreg[192]
v_accvgpr_read_b32 v[vgprValuC+9], acc208 // copy acc to vreg[193]
v_accvgpr_read_b32 v[vgprValuC+10], acc224 // copy acc to vreg[194]
v_accvgpr_read_b32 v[vgprValuC+11], acc240 // copy acc to vreg[195]
v_accvgpr_read_b32 v[vgprValuC+12], acc193 // copy acc to vreg[196]
v_accvgpr_read_b32 v[vgprValuC+13], acc209 // copy acc to vreg[197]
v_accvgpr_read_b32 v[vgprValuC+14], acc225 // copy acc to vreg[198]
v_accvgpr_read_b32 v[vgprValuC+15], acc241 // copy acc to vreg[199]
v_accvgpr_read_b32 v[vgprValuC+20], acc194 // copy acc to vreg[200]
v_accvgpr_read_b32 v[vgprValuC+21], acc210 // copy acc to vreg[201]
v_accvgpr_read_b32 v[vgprValuC+22], acc226 // copy acc to vreg[202]
v_accvgpr_read_b32 v[vgprValuC+23], acc242 // copy acc to vreg[203]
v_accvgpr_read_b32 v[vgprValuC+24], acc195 // copy acc to vreg[204]
v_accvgpr_read_b32 v[vgprValuC+25], acc211 // copy acc to vreg[205]
v_accvgpr_read_b32 v[vgprValuC+26], acc227 // copy acc to vreg[206]
v_accvgpr_read_b32 v[vgprValuC+27], acc243 // copy acc to vreg[207]
v_accvgpr_read_b32 v[vgprValuC+28], acc196 // copy acc to vreg[208]
v_accvgpr_read_b32 v[vgprValuC+29], acc212 // copy acc to vreg[209]
v_accvgpr_read_b32 v[vgprValuC+30], acc228 // copy acc to vreg[210]
v_accvgpr_read_b32 v[vgprValuC+31], acc244 // copy acc to vreg[211]
v_accvgpr_read_b32 v[vgprValuC+32], acc197 // copy acc to vreg[212]
v_accvgpr_read_b32 v[vgprValuC+33], acc213 // copy acc to vreg[213]
v_accvgpr_read_b32 v[vgprValuC+34], acc229 // copy acc to vreg[214]
v_accvgpr_read_b32 v[vgprValuC+35], acc245 // copy acc to vreg[215]
v_accvgpr_read_b32 v[vgprValuC+44], acc198 // copy acc to vreg[216]
v_accvgpr_read_b32 v[vgprValuC+45], acc214 // copy acc to vreg[217]
v_accvgpr_read_b32 v[vgprValuC+46], acc230 // copy acc to vreg[218]
v_accvgpr_read_b32 v[vgprValuC+47], acc246 // copy acc to vreg[219]
v_accvgpr_read_b32 v[vgprValuC+48], acc199 // copy acc to vreg[220]
v_accvgpr_read_b32 v[vgprValuC+49], acc215 // copy acc to vreg[221]
v_accvgpr_read_b32 v[vgprValuC+50], acc231 // copy acc to vreg[222]
v_accvgpr_read_b32 v[vgprValuC+51], acc247 // copy acc to vreg[223]
v_accvgpr_read_b32 v[vgprValuC+52], acc200 // copy acc to vreg[224]
v_accvgpr_read_b32 v[vgprValuC+53], acc216 // copy acc to vreg[225]
v_accvgpr_read_b32 v[vgprValuC+54], acc232 // copy acc to vreg[226]
v_accvgpr_read_b32 v[vgprValuC+55], acc248 // copy acc to vreg[227]
v_accvgpr_read_b32 v[vgprValuC+56], acc201 // copy acc to vreg[228]
v_accvgpr_read_b32 v[vgprValuC+57], acc217 // copy acc to vreg[229]
v_accvgpr_read_b32 v[vgprValuC+58], acc233 // copy acc to vreg[230]
v_accvgpr_read_b32 v[vgprValuC+59], acc249 // copy acc to vreg[231]
v_accvgpr_read_b32 v[vgprValuC+60], acc202 // copy acc to vreg[232]
v_accvgpr_read_b32 v[vgprValuC+61], acc218 // copy acc to vreg[233]
v_accvgpr_read_b32 v[vgprValuC+62], acc234 // copy acc to vreg[234]
v_accvgpr_read_b32 v[vgprValuC+63], acc250 // copy acc to vreg[235]
v_accvgpr_read_b32 v[vgprValuC+68], acc203 // copy acc to vreg[236]
v_accvgpr_read_b32 v[vgprValuC+69], acc219 // copy acc to vreg[237]
v_accvgpr_read_b32 v[vgprValuC+70], acc235 // copy acc to vreg[238]
v_accvgpr_read_b32 v[vgprValuC+71], acc251 // copy acc to vreg[239]
v_accvgpr_read_b32 v[vgprValuC+72], acc204 // copy acc to vreg[240]
v_accvgpr_read_b32 v[vgprValuC+73], acc220 // copy acc to vreg[241]
v_accvgpr_read_b32 v[vgprValuC+74], acc236 // copy acc to vreg[242]
v_accvgpr_read_b32 v[vgprValuC+75], acc252 // copy acc to vreg[243]
v_accvgpr_read_b32 v[vgprValuC+76], acc205 // copy acc to vreg[244]
v_accvgpr_read_b32 v[vgprValuC+77], acc221 // copy acc to vreg[245]
v_accvgpr_read_b32 v[vgprValuC+78], acc237 // copy acc to vreg[246]
v_accvgpr_read_b32 v[vgprValuC+79], acc253 // copy acc to vreg[247]
v_accvgpr_read_b32 v[vgprValuC+80], acc206 // copy acc to vreg[248]
v_accvgpr_read_b32 v[vgprValuC+81], acc222 // copy acc to vreg[249]
v_accvgpr_read_b32 v[vgprValuC+82], acc238 // copy acc to vreg[250]
v_accvgpr_read_b32 v[vgprValuC+83], acc254 // copy acc to vreg[251]
v_accvgpr_read_b32 v[vgprValuC+88], acc207 // copy acc to vreg[252]
v_accvgpr_read_b32 v[vgprValuC+89], acc223 // copy acc to vreg[253]
v_accvgpr_read_b32 v[vgprValuC+90], acc239 // copy acc to vreg[254]
v_accvgpr_read_b32 v[vgprValuC+91], acc255 // copy acc to vreg[255]
s_nop 1                                            // 2 wait states required before reading vgpr

/* rC *= alpha batchElements=[(0, 0, 3, 0), (0, 0, 3, 4), (0, 0, 3, 8), (0, 0, 3, 12), (0, 1, 3, 0), (0, 1, 3, 4), (0, 1, 3, 8), (0, 1, 3, 12), (0, 2, 3, 0), (0, 2, 3, 4), (0, 2, 3, 8), (0, 2, 3, 12), (0, 3, 3, 0), (0, 3, 3, 4), (0, 3, 3, 8), (0, 3, 3, 12)] */
v_mul_lo_u32 v[vgprValuC+8], s[sgprAlpha], v[vgprValuC+8] // *= alpha
v_mul_lo_u32 v[vgprValuC+9], s[sgprAlpha], v[vgprValuC+9] // *= alpha
	;; [unrolled: 1-line block ×64, first 2 shown]

/* apply mask, calc new C and issue writes */
_buffer_store_b128 v[8:11], v6, s[sgprSrdD:sgprSrdD+3], 0, offen, offset:0 // store D
_buffer_store_b128 v[12:15], v7, s[sgprSrdD:sgprSrdD+3], 0, offen, offset:0 // store D
	;; [unrolled: 1-line block ×16, first 2 shown]
s_nop 0                                            // 1 wait state required when next inst writes vgprs held by previous dwordx4 store inst
s_branch label_GW_End_238                          // jump to end
GW_Beta_239:
s_and_b32 s64, 255, s[sgprSizeI]                   // s64 = s[sgprSizeI] % 256
s_add_u32 s65, -0x1, s[sgprNumWorkGroups0]         // 
s_cmp_ge_u32 s[sgprWorkGroup0], s65                // wg0 >= nwg0-1 ?
s_cselect_b32 s64, s64, 0                          // set rMT0
s_cmpk_gt_u32 s64, 0x0                             // rMT0 > 0
s_cbranch_scc1 GW_B1_E1_237                        // jump if edges required
s_and_b32 s64, 255, s[sgprSizeJ]                   // s64 = s[sgprSizeJ] % 256
s_add_u32 s65, -0x1, s[sgprNumWorkGroups1]         // 
s_cmp_ge_u32 s[sgprWorkGroup1], s65                // wg1 >= nwg1-1
s_cselect_b32 s64, s64, 0                          // set rMT1
s_cmpk_gt_u32 s64, 0x0                             // rMT1 > 0
s_cbranch_scc1 GW_B1_E1_237                        // jump if edges required
GW_B1_E0_234:

/* edge=0, allocate 2 sgpr. perBatchTmpS=2 perBatchMaskS=0 perElementMaskS=0 elementsPerBatch=29 */
/* optSingleColVgpr=1 optSharedColVgpr=0 optSGPRUsage=BufferLoad_Mask optSrdIncForRow=1 */

/******************************************/
/* Global Write Alpha Beta Batch #0 (d1,d0,vc1,vc0) = */
/*    (0,0,0,0:vw4); (0,0,0,4:vw4); (0,0,0,8:vw4); (0,0,0,12:vw4); (0,1,0,0:vw4); (0,1,0,4:vw4); (0,1,0,8:vw4); (0,1,0,12:vw4); (0,2,0,0:vw4); (0,2,0,4:vw4); (0,2,0,8:vw4); (0,2,0,12:vw4); (0,3,0,0:vw4); (0,3,0,4:vw4); (0,3,0,8:vw4); (0,3,0,12:vw4); (0,0,1,0:vw4); (0,0,1,4:vw4); (0,0,1,8:vw4); (0,0,1,12:vw4); (0,1,1,0:vw4); (0,1,1,4:vw4); (0,1,1,8:vw4); (0,1,1,12:vw4); (0,2,1,0:vw4); (0,2,1,4:vw4); (0,2,1,8:vw4); (0,2,1,12:vw4); (0,3,1,0:vw4) */
/******************************************/

/* calc coords, apply mask, and issue loads (if necessary) */
/* (d1,vc1,d0,vc0)=(0,0,0,0) */
_v_add_lshl_u32 v7, v2, v0, 0x2                    // optSingleColVgpr scaleToBpe: sharedAddrVgpr <- cinRowPtr + coord0, scaled by BPE. BSHERE:coord0=0, coord0Vgpr=0
_buffer_load_b128 v[8:11], v7, s[sgprSrdC:sgprSrdC+3], 0, offen offset:0 // load C for beta calc
/* (d1,vc1,d0,vc0)=(0,0,0,4) */
_buffer_load_b128 v[16:19], v7, s[sgprSrdC:sgprSrdC+3], 0, offen offset:16 // load C for beta calc
/* (d1,vc1,d0,vc0)=(0,0,0,8) */
	;; [unrolled: 2-line block ×16, first 2 shown]
s_lshl_b32  s42, s[sgprStrideC1J], 2               // incToNextRow: Scale by BPE
s_add_u32  s[sgprSrdC+0], s[sgprSrdC+0], s42       // incToNextRow: gra SRD += inc(lower)
s_addc_u32  s[sgprSrdC+1], s[sgprSrdC+1], 0        // incToNextRow: gra SRD += inc(upper)
_buffer_load_b128 v[144:147], v7, s[sgprSrdC:sgprSrdC+3], 0, offen offset:0 // load C for beta calc
/* (d1,vc1,d0,vc0)=(0,1,0,4) */
_buffer_load_b128 v[152:155], v7, s[sgprSrdC:sgprSrdC+3], 0, offen offset:16 // load C for beta calc
/* (d1,vc1,d0,vc0)=(0,1,0,8) */
	;; [unrolled: 2-line block ×12, first 2 shown]
_buffer_load_b128 v[240:243], v7, s[sgprSrdC:sgprSrdC+3], 0, offen offset:384 // load C for beta calc
_v_add_lshl_u32 v6, v3, v0, 0x2                    // optSingleColVgpr scaleToBpe: sharedAddrVgpr <- cinRowPtr + coord0, scaled by BPE. BSHERE:coord0=0, coord0Vgpr=0
v_accvgpr_read_b32 v[vgprValuC+12], acc0 // copy acc to vreg[0]
v_accvgpr_read_b32 v[vgprValuC+13], acc16 // copy acc to vreg[1]
v_accvgpr_read_b32 v[vgprValuC+14], acc32 // copy acc to vreg[2]
v_accvgpr_read_b32 v[vgprValuC+15], acc48 // copy acc to vreg[3]
v_accvgpr_read_b32 v[vgprValuC+20], acc1 // copy acc to vreg[4]
v_accvgpr_read_b32 v[vgprValuC+21], acc17 // copy acc to vreg[5]
v_accvgpr_read_b32 v[vgprValuC+22], acc33 // copy acc to vreg[6]
v_accvgpr_read_b32 v[vgprValuC+23], acc49 // copy acc to vreg[7]
v_accvgpr_read_b32 v[vgprValuC+28], acc2 // copy acc to vreg[8]
v_accvgpr_read_b32 v[vgprValuC+29], acc18 // copy acc to vreg[9]
v_accvgpr_read_b32 v[vgprValuC+30], acc34 // copy acc to vreg[10]
v_accvgpr_read_b32 v[vgprValuC+31], acc50 // copy acc to vreg[11]
v_accvgpr_read_b32 v[vgprValuC+44], acc3 // copy acc to vreg[12]
v_accvgpr_read_b32 v[vgprValuC+45], acc19 // copy acc to vreg[13]
v_accvgpr_read_b32 v[vgprValuC+46], acc35 // copy acc to vreg[14]
v_accvgpr_read_b32 v[vgprValuC+47], acc51 // copy acc to vreg[15]
v_accvgpr_read_b32 v[vgprValuC+52], acc4 // copy acc to vreg[16]
v_accvgpr_read_b32 v[vgprValuC+53], acc20 // copy acc to vreg[17]
v_accvgpr_read_b32 v[vgprValuC+54], acc36 // copy acc to vreg[18]
v_accvgpr_read_b32 v[vgprValuC+55], acc52 // copy acc to vreg[19]
v_accvgpr_read_b32 v[vgprValuC+60], acc5 // copy acc to vreg[20]
v_accvgpr_read_b32 v[vgprValuC+61], acc21 // copy acc to vreg[21]
v_accvgpr_read_b32 v[vgprValuC+62], acc37 // copy acc to vreg[22]
v_accvgpr_read_b32 v[vgprValuC+63], acc53 // copy acc to vreg[23]
v_accvgpr_read_b32 v[vgprValuC+68], acc6 // copy acc to vreg[24]
v_accvgpr_read_b32 v[vgprValuC+69], acc22 // copy acc to vreg[25]
v_accvgpr_read_b32 v[vgprValuC+70], acc38 // copy acc to vreg[26]
v_accvgpr_read_b32 v[vgprValuC+71], acc54 // copy acc to vreg[27]
v_accvgpr_read_b32 v[vgprValuC+76], acc7 // copy acc to vreg[28]
v_accvgpr_read_b32 v[vgprValuC+77], acc23 // copy acc to vreg[29]
v_accvgpr_read_b32 v[vgprValuC+78], acc39 // copy acc to vreg[30]
v_accvgpr_read_b32 v[vgprValuC+79], acc55 // copy acc to vreg[31]
v_accvgpr_read_b32 v[vgprValuC+84], acc8 // copy acc to vreg[32]
v_accvgpr_read_b32 v[vgprValuC+85], acc24 // copy acc to vreg[33]
v_accvgpr_read_b32 v[vgprValuC+86], acc40 // copy acc to vreg[34]
v_accvgpr_read_b32 v[vgprValuC+87], acc56 // copy acc to vreg[35]
v_accvgpr_read_b32 v[vgprValuC+92], acc9 // copy acc to vreg[36]
v_accvgpr_read_b32 v[vgprValuC+93], acc25 // copy acc to vreg[37]
v_accvgpr_read_b32 v[vgprValuC+94], acc41 // copy acc to vreg[38]
v_accvgpr_read_b32 v[vgprValuC+95], acc57 // copy acc to vreg[39]
v_accvgpr_read_b32 v[vgprValuC+100], acc10 // copy acc to vreg[40]
v_accvgpr_read_b32 v[vgprValuC+101], acc26 // copy acc to vreg[41]
v_accvgpr_read_b32 v[vgprValuC+102], acc42 // copy acc to vreg[42]
v_accvgpr_read_b32 v[vgprValuC+103], acc58 // copy acc to vreg[43]
v_accvgpr_read_b32 v[vgprValuC+108], acc11 // copy acc to vreg[44]
v_accvgpr_read_b32 v[vgprValuC+109], acc27 // copy acc to vreg[45]
v_accvgpr_read_b32 v[vgprValuC+110], acc43 // copy acc to vreg[46]
v_accvgpr_read_b32 v[vgprValuC+111], acc59 // copy acc to vreg[47]
v_accvgpr_read_b32 v[vgprValuC+116], acc12 // copy acc to vreg[48]
v_accvgpr_read_b32 v[vgprValuC+117], acc28 // copy acc to vreg[49]
v_accvgpr_read_b32 v[vgprValuC+118], acc44 // copy acc to vreg[50]
v_accvgpr_read_b32 v[vgprValuC+119], acc60 // copy acc to vreg[51]
v_accvgpr_read_b32 v[vgprValuC+124], acc13 // copy acc to vreg[52]
v_accvgpr_read_b32 v[vgprValuC+125], acc29 // copy acc to vreg[53]
v_accvgpr_read_b32 v[vgprValuC+126], acc45 // copy acc to vreg[54]
v_accvgpr_read_b32 v[vgprValuC+127], acc61 // copy acc to vreg[55]
v_accvgpr_read_b32 v[vgprValuC+132], acc14 // copy acc to vreg[56]
v_accvgpr_read_b32 v[vgprValuC+133], acc30 // copy acc to vreg[57]
v_accvgpr_read_b32 v[vgprValuC+134], acc46 // copy acc to vreg[58]
v_accvgpr_read_b32 v[vgprValuC+135], acc62 // copy acc to vreg[59]
v_accvgpr_read_b32 v[vgprValuC+140], acc15 // copy acc to vreg[60]
v_accvgpr_read_b32 v[vgprValuC+141], acc31 // copy acc to vreg[61]
v_accvgpr_read_b32 v[vgprValuC+142], acc47 // copy acc to vreg[62]
v_accvgpr_read_b32 v[vgprValuC+143], acc63 // copy acc to vreg[63]
v_accvgpr_read_b32 v[vgprValuC+148], acc64 // copy acc to vreg[64]
v_accvgpr_read_b32 v[vgprValuC+149], acc80 // copy acc to vreg[65]
v_accvgpr_read_b32 v[vgprValuC+150], acc96 // copy acc to vreg[66]
v_accvgpr_read_b32 v[vgprValuC+151], acc112 // copy acc to vreg[67]
v_accvgpr_read_b32 v[vgprValuC+156], acc65 // copy acc to vreg[68]
v_accvgpr_read_b32 v[vgprValuC+157], acc81 // copy acc to vreg[69]
v_accvgpr_read_b32 v[vgprValuC+158], acc97 // copy acc to vreg[70]
v_accvgpr_read_b32 v[vgprValuC+159], acc113 // copy acc to vreg[71]
v_accvgpr_read_b32 v[vgprValuC+164], acc66 // copy acc to vreg[72]
v_accvgpr_read_b32 v[vgprValuC+165], acc82 // copy acc to vreg[73]
v_accvgpr_read_b32 v[vgprValuC+166], acc98 // copy acc to vreg[74]
v_accvgpr_read_b32 v[vgprValuC+167], acc114 // copy acc to vreg[75]
v_accvgpr_read_b32 v[vgprValuC+172], acc67 // copy acc to vreg[76]
v_accvgpr_read_b32 v[vgprValuC+173], acc83 // copy acc to vreg[77]
v_accvgpr_read_b32 v[vgprValuC+174], acc99 // copy acc to vreg[78]
v_accvgpr_read_b32 v[vgprValuC+175], acc115 // copy acc to vreg[79]
v_accvgpr_read_b32 v[vgprValuC+180], acc68 // copy acc to vreg[80]
v_accvgpr_read_b32 v[vgprValuC+181], acc84 // copy acc to vreg[81]
v_accvgpr_read_b32 v[vgprValuC+182], acc100 // copy acc to vreg[82]
v_accvgpr_read_b32 v[vgprValuC+183], acc116 // copy acc to vreg[83]
v_accvgpr_read_b32 v[vgprValuC+188], acc69 // copy acc to vreg[84]
v_accvgpr_read_b32 v[vgprValuC+189], acc85 // copy acc to vreg[85]
v_accvgpr_read_b32 v[vgprValuC+190], acc101 // copy acc to vreg[86]
v_accvgpr_read_b32 v[vgprValuC+191], acc117 // copy acc to vreg[87]
v_accvgpr_read_b32 v[vgprValuC+196], acc70 // copy acc to vreg[88]
v_accvgpr_read_b32 v[vgprValuC+197], acc86 // copy acc to vreg[89]
v_accvgpr_read_b32 v[vgprValuC+198], acc102 // copy acc to vreg[90]
v_accvgpr_read_b32 v[vgprValuC+199], acc118 // copy acc to vreg[91]
v_accvgpr_read_b32 v[vgprValuC+204], acc71 // copy acc to vreg[92]
v_accvgpr_read_b32 v[vgprValuC+205], acc87 // copy acc to vreg[93]
v_accvgpr_read_b32 v[vgprValuC+206], acc103 // copy acc to vreg[94]
v_accvgpr_read_b32 v[vgprValuC+207], acc119 // copy acc to vreg[95]
v_accvgpr_read_b32 v[vgprValuC+212], acc72 // copy acc to vreg[96]
v_accvgpr_read_b32 v[vgprValuC+213], acc88 // copy acc to vreg[97]
v_accvgpr_read_b32 v[vgprValuC+214], acc104 // copy acc to vreg[98]
v_accvgpr_read_b32 v[vgprValuC+215], acc120 // copy acc to vreg[99]
v_accvgpr_read_b32 v[vgprValuC+220], acc73 // copy acc to vreg[100]
v_accvgpr_read_b32 v[vgprValuC+221], acc89 // copy acc to vreg[101]
v_accvgpr_read_b32 v[vgprValuC+222], acc105 // copy acc to vreg[102]
v_accvgpr_read_b32 v[vgprValuC+223], acc121 // copy acc to vreg[103]
v_accvgpr_read_b32 v[vgprValuC+228], acc74 // copy acc to vreg[104]
v_accvgpr_read_b32 v[vgprValuC+229], acc90 // copy acc to vreg[105]
v_accvgpr_read_b32 v[vgprValuC+230], acc106 // copy acc to vreg[106]
v_accvgpr_read_b32 v[vgprValuC+231], acc122 // copy acc to vreg[107]
v_accvgpr_read_b32 v[vgprValuC+236], acc75 // copy acc to vreg[108]
v_accvgpr_read_b32 v[vgprValuC+237], acc91 // copy acc to vreg[109]
v_accvgpr_read_b32 v[vgprValuC+238], acc107 // copy acc to vreg[110]
v_accvgpr_read_b32 v[vgprValuC+239], acc123 // copy acc to vreg[111]
v_accvgpr_read_b32 v[vgprValuC+244], acc76 // copy acc to vreg[112]
v_accvgpr_read_b32 v[vgprValuC+245], acc92 // copy acc to vreg[113]
v_accvgpr_read_b32 v[vgprValuC+246], acc108 // copy acc to vreg[114]
v_accvgpr_read_b32 v[vgprValuC+247], acc124 // copy acc to vreg[115]
s_nop 1                                            // 2 wait states required before reading vgpr

/* rC *= alpha batchElements=[(0, 0, 0, 0), (0, 0, 0, 4), (0, 0, 0, 8), (0, 0, 0, 12), (0, 1, 0, 0), (0, 1, 0, 4), (0, 1, 0, 8), (0, 1, 0, 12), (0, 2, 0, 0), (0, 2, 0, 4), (0, 2, 0, 8), (0, 2, 0, 12), (0, 3, 0, 0), (0, 3, 0, 4), (0, 3, 0, 8), (0, 3, 0, 12), (0, 0, 1, 0), (0, 0, 1, 4), (0, 0, 1, 8), (0, 0, 1, 12), (0, 1, 1, 0), (0, 1, 1, 4), (0, 1, 1, 8), (0, 1, 1, 12), (0, 2, 1, 0), (0, 2, 1, 4), (0, 2, 1, 8), (0, 2, 1, 12), (0, 3, 1, 0)] */
v_mul_lo_u32 v[vgprValuC+12], s[sgprAlpha], v[vgprValuC+12] // *= alpha
v_mul_lo_u32 v[vgprValuC+13], s[sgprAlpha], v[vgprValuC+13] // *= alpha
	;; [unrolled: 1-line block ×116, first 2 shown]

/* apply mask, calc new C and issue writes */

s_waitcnt vmcnt(28)                                // wait C (interleaved) 28 = 29 - 0 + 0 - 1
v_mul_lo_u32 v8, s[sgprBeta], v8                   // C = C*beta
_v_add_u32 v[vgprValuC+12], v8, v[vgprValuC+12]    // finalSum = sum*alpha + C*beta
v_mul_lo_u32 v9, s[sgprBeta], v9                   // C = C*beta
_v_add_u32 v[vgprValuC+13], v9, v[vgprValuC+13]    // finalSum = sum*alpha + C*beta
v_mul_lo_u32 v10, s[sgprBeta], v10                 // C = C*beta
_v_add_u32 v[vgprValuC+14], v10, v[vgprValuC+14]   // finalSum = sum*alpha + C*beta
v_mul_lo_u32 v11, s[sgprBeta], v11                 // C = C*beta
_v_add_u32 v[vgprValuC+15], v11, v[vgprValuC+15]   // finalSum = sum*alpha + C*beta
_buffer_store_b128 v[12:15], v6, s[sgprSrdD:sgprSrdD+3], 0, offen, offset:0 // store D

s_waitcnt vmcnt(28)                                // wait C (interleaved) 28 = 29 - 1 + 1 - 1
v_mul_lo_u32 v16, s[sgprBeta], v16                 // C = C*beta
_v_add_u32 v[vgprValuC+20], v16, v[vgprValuC+20]   // finalSum = sum*alpha + C*beta
v_mul_lo_u32 v17, s[sgprBeta], v17                 // C = C*beta
_v_add_u32 v[vgprValuC+21], v17, v[vgprValuC+21]   // finalSum = sum*alpha + C*beta
v_mul_lo_u32 v18, s[sgprBeta], v18                 // C = C*beta
_v_add_u32 v[vgprValuC+22], v18, v[vgprValuC+22]   // finalSum = sum*alpha + C*beta
v_mul_lo_u32 v19, s[sgprBeta], v19                 // C = C*beta
_v_add_u32 v[vgprValuC+23], v19, v[vgprValuC+23]   // finalSum = sum*alpha + C*beta
_buffer_store_b128 v[20:23], v6, s[sgprSrdD:sgprSrdD+3], 0, offen, offset:16 // store D

s_waitcnt vmcnt(28)                                // wait C (interleaved) 28 = 29 - 2 + 2 - 1
v_mul_lo_u32 v24, s[sgprBeta], v24                 // C = C*beta
_v_add_u32 v[vgprValuC+28], v24, v[vgprValuC+28]   // finalSum = sum*alpha + C*beta
v_mul_lo_u32 v25, s[sgprBeta], v25                 // C = C*beta
_v_add_u32 v[vgprValuC+29], v25, v[vgprValuC+29]   // finalSum = sum*alpha + C*beta
	;; [unrolled: 11-line block ×9, first 2 shown]
v_mul_lo_u32 v90, s[sgprBeta], v90                 // C = C*beta
_v_add_u32 v[vgprValuC+94], v90, v[vgprValuC+94]   // finalSum = sum*alpha + C*beta
v_mul_lo_u32 v91, s[sgprBeta], v91                 // C = C*beta
_v_add_u32 v[vgprValuC+95], v91, v[vgprValuC+95]   // finalSum = sum*alpha + C*beta
_buffer_store_b128 v[92:95], v6, s[sgprSrdD:sgprSrdD+3], 0, offen, offset:272 // store D

s_waitcnt vmcnt(28)                                // wait C (interleaved) 28 = 29 - 10 + 10 - 1
v_mul_lo_u32 v96, s[sgprBeta], v96                 // C = C*beta
_v_add_u32 v[vgprValuC+100], v96, v[vgprValuC+100] // finalSum = sum*alpha + C*beta
v_mul_lo_u32 v97, s[sgprBeta], v97                 // C = C*beta
_v_add_u32 v[vgprValuC+101], v97, v[vgprValuC+101] // finalSum = sum*alpha + C*beta
	;; [unrolled: 2-line block ×4, first 2 shown]
_buffer_store_b128 v[100:103], v6, s[sgprSrdD:sgprSrdD+3], 0, offen, offset:288 // store D

s_waitcnt vmcnt(28)                                // wait C (interleaved) 28 = 29 - 11 + 11 - 1
v_mul_lo_u32 v104, s[sgprBeta], v104               // C = C*beta
_v_add_u32 v[vgprValuC+108], v104, v[vgprValuC+108] // finalSum = sum*alpha + C*beta
v_mul_lo_u32 v105, s[sgprBeta], v105               // C = C*beta
_v_add_u32 v[vgprValuC+109], v105, v[vgprValuC+109] // finalSum = sum*alpha + C*beta
v_mul_lo_u32 v106, s[sgprBeta], v106               // C = C*beta
_v_add_u32 v[vgprValuC+110], v106, v[vgprValuC+110] // finalSum = sum*alpha + C*beta
v_mul_lo_u32 v107, s[sgprBeta], v107               // C = C*beta
_v_add_u32 v[vgprValuC+111], v107, v[vgprValuC+111] // finalSum = sum*alpha + C*beta
_buffer_store_b128 v[108:111], v6, s[sgprSrdD:sgprSrdD+3], 0, offen, offset:304 // store D

s_waitcnt vmcnt(28)                                // wait C (interleaved) 28 = 29 - 12 + 12 - 1
v_mul_lo_u32 v112, s[sgprBeta], v112               // C = C*beta
_v_add_u32 v[vgprValuC+116], v112, v[vgprValuC+116] // finalSum = sum*alpha + C*beta
v_mul_lo_u32 v113, s[sgprBeta], v113               // C = C*beta
_v_add_u32 v[vgprValuC+117], v113, v[vgprValuC+117] // finalSum = sum*alpha + C*beta
v_mul_lo_u32 v114, s[sgprBeta], v114               // C = C*beta
_v_add_u32 v[vgprValuC+118], v114, v[vgprValuC+118] // finalSum = sum*alpha + C*beta
v_mul_lo_u32 v115, s[sgprBeta], v115               // C = C*beta
_v_add_u32 v[vgprValuC+119], v115, v[vgprValuC+119] // finalSum = sum*alpha + C*beta
	;; [unrolled: 11-line block ×6, first 2 shown]
s_lshl_b32  s42, s[sgprStrideD1J], 2               // incToNextRow: Scale by BPE
s_add_u32  s[sgprSrdD+0], s[sgprSrdD+0], s42       // incToNextRow: gra SRD += inc(lower)
s_addc_u32  s[sgprSrdD+1], s[sgprSrdD+1], 0        // incToNextRow: gra SRD += inc(upper)
_buffer_store_b128 v[148:151], v6, s[sgprSrdD:sgprSrdD+3], 0, offen, offset:0 // store D

s_waitcnt vmcnt(28)                                // wait C (interleaved) 28 = 29 - 17 + 17 - 1
v_mul_lo_u32 v152, s[sgprBeta], v152               // C = C*beta
_v_add_u32 v[vgprValuC+156], v152, v[vgprValuC+156] // finalSum = sum*alpha + C*beta
v_mul_lo_u32 v153, s[sgprBeta], v153               // C = C*beta
_v_add_u32 v[vgprValuC+157], v153, v[vgprValuC+157] // finalSum = sum*alpha + C*beta
v_mul_lo_u32 v154, s[sgprBeta], v154               // C = C*beta
_v_add_u32 v[vgprValuC+158], v154, v[vgprValuC+158] // finalSum = sum*alpha + C*beta
v_mul_lo_u32 v155, s[sgprBeta], v155               // C = C*beta
_v_add_u32 v[vgprValuC+159], v155, v[vgprValuC+159] // finalSum = sum*alpha + C*beta
_buffer_store_b128 v[156:159], v6, s[sgprSrdD:sgprSrdD+3], 0, offen, offset:16 // store D

s_waitcnt vmcnt(28)                                // wait C (interleaved) 28 = 29 - 18 + 18 - 1
v_mul_lo_u32 v160, s[sgprBeta], v160               // C = C*beta
_v_add_u32 v[vgprValuC+164], v160, v[vgprValuC+164] // finalSum = sum*alpha + C*beta
v_mul_lo_u32 v161, s[sgprBeta], v161               // C = C*beta
_v_add_u32 v[vgprValuC+165], v161, v[vgprValuC+165] // finalSum = sum*alpha + C*beta
v_mul_lo_u32 v162, s[sgprBeta], v162               // C = C*beta
_v_add_u32 v[vgprValuC+166], v162, v[vgprValuC+166] // finalSum = sum*alpha + C*beta
v_mul_lo_u32 v163, s[sgprBeta], v163               // C = C*beta
_v_add_u32 v[vgprValuC+167], v163, v[vgprValuC+167] // finalSum = sum*alpha + C*beta
	;; [unrolled: 11-line block ×12, first 2 shown]
_buffer_store_b128 v[244:247], v6, s[sgprSrdD:sgprSrdD+3], 0, offen, offset:384 // store D
s_nop 0                                            // 1 wait state required when next inst writes vgprs held by previous dwordx4 store inst
/* optSingleColVgpr=1 optSharedColVgpr=0 optSGPRUsage=BufferLoad_Mask optSrdIncForRow=1 */

/******************************************/
/* Global Write Alpha Beta Batch #1 (d1,d0,vc1,vc0) = */
/*    (0,3,1,4:vw4); (0,3,1,8:vw4); (0,3,1,12:vw4); (0,0,2,0:vw4); (0,0,2,4:vw4); (0,0,2,8:vw4); (0,0,2,12:vw4); (0,1,2,0:vw4); (0,1,2,4:vw4); (0,1,2,8:vw4); (0,1,2,12:vw4); (0,2,2,0:vw4); (0,2,2,4:vw4); (0,2,2,8:vw4); (0,2,2,12:vw4); (0,3,2,0:vw4); (0,3,2,4:vw4); (0,3,2,8:vw4); (0,3,2,12:vw4); (0,0,3,0:vw4); (0,0,3,4:vw4); (0,0,3,8:vw4); (0,0,3,12:vw4); (0,1,3,0:vw4); (0,1,3,4:vw4); (0,1,3,8:vw4); (0,1,3,12:vw4); (0,2,3,0:vw4); (0,2,3,4:vw4) */
/******************************************/

/* calc coords, apply mask, and issue loads (if necessary) */
/* (d1,vc1,d0,vc0)=(0,1,3,4) */
_buffer_load_b128 v[8:11], v7, s[sgprSrdC:sgprSrdC+3], 0, offen offset:400 // load C for beta calc
/* (d1,vc1,d0,vc0)=(0,1,3,8) */
_buffer_load_b128 v[16:19], v7, s[sgprSrdC:sgprSrdC+3], 0, offen offset:416 // load C for beta calc
/* (d1,vc1,d0,vc0)=(0,1,3,12) */
_buffer_load_b128 v[24:27], v7, s[sgprSrdC:sgprSrdC+3], 0, offen offset:432 // load C for beta calc
/* (d1,vc1,d0,vc0)=(0,2,0,0) */
s_lshl_b32  s42, s[sgprStrideC1J], 2               // incToNextRow: Scale by BPE
s_add_u32  s[sgprSrdC+0], s[sgprSrdC+0], s42       // incToNextRow: gra SRD += inc(lower)
s_addc_u32  s[sgprSrdC+1], s[sgprSrdC+1], 0        // incToNextRow: gra SRD += inc(upper)
_buffer_load_b128 v[32:35], v7, s[sgprSrdC:sgprSrdC+3], 0, offen offset:0 // load C for beta calc
/* (d1,vc1,d0,vc0)=(0,2,0,4) */
_buffer_load_b128 v[48:51], v7, s[sgprSrdC:sgprSrdC+3], 0, offen offset:16 // load C for beta calc
/* (d1,vc1,d0,vc0)=(0,2,0,8) */
	;; [unrolled: 2-line block ×16, first 2 shown]
s_lshl_b32  s42, s[sgprStrideC1J], 2               // incToNextRow: Scale by BPE
s_add_u32  s[sgprSrdC+0], s[sgprSrdC+0], s42       // incToNextRow: gra SRD += inc(lower)
s_addc_u32  s[sgprSrdC+1], s[sgprSrdC+1], 0        // incToNextRow: gra SRD += inc(upper)
_buffer_load_b128 v[168:171], v7, s[sgprSrdC:sgprSrdC+3], 0, offen offset:0 // load C for beta calc
/* (d1,vc1,d0,vc0)=(0,3,0,4) */
_buffer_load_b128 v[176:179], v7, s[sgprSrdC:sgprSrdC+3], 0, offen offset:16 // load C for beta calc
/* (d1,vc1,d0,vc0)=(0,3,0,8) */
	;; [unrolled: 2-line block ×9, first 2 shown]
_buffer_load_b128 v[240:243], v7, s[sgprSrdC:sgprSrdC+3], 0, offen offset:272 // load C for beta calc
v_accvgpr_read_b32 v[vgprValuC+12], acc77 // copy acc to vreg[116]
v_accvgpr_read_b32 v[vgprValuC+13], acc93 // copy acc to vreg[117]
v_accvgpr_read_b32 v[vgprValuC+14], acc109 // copy acc to vreg[118]
v_accvgpr_read_b32 v[vgprValuC+15], acc125 // copy acc to vreg[119]
v_accvgpr_read_b32 v[vgprValuC+20], acc78 // copy acc to vreg[120]
v_accvgpr_read_b32 v[vgprValuC+21], acc94 // copy acc to vreg[121]
v_accvgpr_read_b32 v[vgprValuC+22], acc110 // copy acc to vreg[122]
v_accvgpr_read_b32 v[vgprValuC+23], acc126 // copy acc to vreg[123]
v_accvgpr_read_b32 v[vgprValuC+28], acc79 // copy acc to vreg[124]
v_accvgpr_read_b32 v[vgprValuC+29], acc95 // copy acc to vreg[125]
v_accvgpr_read_b32 v[vgprValuC+30], acc111 // copy acc to vreg[126]
v_accvgpr_read_b32 v[vgprValuC+31], acc127 // copy acc to vreg[127]
v_accvgpr_read_b32 v[vgprValuC+44], acc128 // copy acc to vreg[128]
v_accvgpr_read_b32 v[vgprValuC+45], acc144 // copy acc to vreg[129]
v_accvgpr_read_b32 v[vgprValuC+46], acc160 // copy acc to vreg[130]
v_accvgpr_read_b32 v[vgprValuC+47], acc176 // copy acc to vreg[131]
v_accvgpr_read_b32 v[vgprValuC+52], acc129 // copy acc to vreg[132]
v_accvgpr_read_b32 v[vgprValuC+53], acc145 // copy acc to vreg[133]
v_accvgpr_read_b32 v[vgprValuC+54], acc161 // copy acc to vreg[134]
v_accvgpr_read_b32 v[vgprValuC+55], acc177 // copy acc to vreg[135]
v_accvgpr_read_b32 v[vgprValuC+60], acc130 // copy acc to vreg[136]
v_accvgpr_read_b32 v[vgprValuC+61], acc146 // copy acc to vreg[137]
v_accvgpr_read_b32 v[vgprValuC+62], acc162 // copy acc to vreg[138]
v_accvgpr_read_b32 v[vgprValuC+63], acc178 // copy acc to vreg[139]
v_accvgpr_read_b32 v[vgprValuC+68], acc131 // copy acc to vreg[140]
v_accvgpr_read_b32 v[vgprValuC+69], acc147 // copy acc to vreg[141]
v_accvgpr_read_b32 v[vgprValuC+70], acc163 // copy acc to vreg[142]
v_accvgpr_read_b32 v[vgprValuC+71], acc179 // copy acc to vreg[143]
v_accvgpr_read_b32 v[vgprValuC+76], acc132 // copy acc to vreg[144]
v_accvgpr_read_b32 v[vgprValuC+77], acc148 // copy acc to vreg[145]
v_accvgpr_read_b32 v[vgprValuC+78], acc164 // copy acc to vreg[146]
v_accvgpr_read_b32 v[vgprValuC+79], acc180 // copy acc to vreg[147]
v_accvgpr_read_b32 v[vgprValuC+84], acc133 // copy acc to vreg[148]
v_accvgpr_read_b32 v[vgprValuC+85], acc149 // copy acc to vreg[149]
v_accvgpr_read_b32 v[vgprValuC+86], acc165 // copy acc to vreg[150]
v_accvgpr_read_b32 v[vgprValuC+87], acc181 // copy acc to vreg[151]
v_accvgpr_read_b32 v[vgprValuC+92], acc134 // copy acc to vreg[152]
v_accvgpr_read_b32 v[vgprValuC+93], acc150 // copy acc to vreg[153]
v_accvgpr_read_b32 v[vgprValuC+94], acc166 // copy acc to vreg[154]
v_accvgpr_read_b32 v[vgprValuC+95], acc182 // copy acc to vreg[155]
v_accvgpr_read_b32 v[vgprValuC+100], acc135 // copy acc to vreg[156]
v_accvgpr_read_b32 v[vgprValuC+101], acc151 // copy acc to vreg[157]
v_accvgpr_read_b32 v[vgprValuC+102], acc167 // copy acc to vreg[158]
v_accvgpr_read_b32 v[vgprValuC+103], acc183 // copy acc to vreg[159]
v_accvgpr_read_b32 v[vgprValuC+108], acc136 // copy acc to vreg[160]
v_accvgpr_read_b32 v[vgprValuC+109], acc152 // copy acc to vreg[161]
v_accvgpr_read_b32 v[vgprValuC+110], acc168 // copy acc to vreg[162]
v_accvgpr_read_b32 v[vgprValuC+111], acc184 // copy acc to vreg[163]
v_accvgpr_read_b32 v[vgprValuC+116], acc137 // copy acc to vreg[164]
v_accvgpr_read_b32 v[vgprValuC+117], acc153 // copy acc to vreg[165]
v_accvgpr_read_b32 v[vgprValuC+118], acc169 // copy acc to vreg[166]
v_accvgpr_read_b32 v[vgprValuC+119], acc185 // copy acc to vreg[167]
v_accvgpr_read_b32 v[vgprValuC+124], acc138 // copy acc to vreg[168]
v_accvgpr_read_b32 v[vgprValuC+125], acc154 // copy acc to vreg[169]
v_accvgpr_read_b32 v[vgprValuC+126], acc170 // copy acc to vreg[170]
v_accvgpr_read_b32 v[vgprValuC+127], acc186 // copy acc to vreg[171]
v_accvgpr_read_b32 v[vgprValuC+132], acc139 // copy acc to vreg[172]
v_accvgpr_read_b32 v[vgprValuC+133], acc155 // copy acc to vreg[173]
v_accvgpr_read_b32 v[vgprValuC+134], acc171 // copy acc to vreg[174]
v_accvgpr_read_b32 v[vgprValuC+135], acc187 // copy acc to vreg[175]
v_accvgpr_read_b32 v[vgprValuC+140], acc140 // copy acc to vreg[176]
v_accvgpr_read_b32 v[vgprValuC+141], acc156 // copy acc to vreg[177]
v_accvgpr_read_b32 v[vgprValuC+142], acc172 // copy acc to vreg[178]
v_accvgpr_read_b32 v[vgprValuC+143], acc188 // copy acc to vreg[179]
v_accvgpr_read_b32 v[vgprValuC+148], acc141 // copy acc to vreg[180]
v_accvgpr_read_b32 v[vgprValuC+149], acc157 // copy acc to vreg[181]
v_accvgpr_read_b32 v[vgprValuC+150], acc173 // copy acc to vreg[182]
v_accvgpr_read_b32 v[vgprValuC+151], acc189 // copy acc to vreg[183]
v_accvgpr_read_b32 v[vgprValuC+156], acc142 // copy acc to vreg[184]
v_accvgpr_read_b32 v[vgprValuC+157], acc158 // copy acc to vreg[185]
v_accvgpr_read_b32 v[vgprValuC+158], acc174 // copy acc to vreg[186]
v_accvgpr_read_b32 v[vgprValuC+159], acc190 // copy acc to vreg[187]
v_accvgpr_read_b32 v[vgprValuC+164], acc143 // copy acc to vreg[188]
v_accvgpr_read_b32 v[vgprValuC+165], acc159 // copy acc to vreg[189]
v_accvgpr_read_b32 v[vgprValuC+166], acc175 // copy acc to vreg[190]
v_accvgpr_read_b32 v[vgprValuC+167], acc191 // copy acc to vreg[191]
v_accvgpr_read_b32 v[vgprValuC+172], acc192 // copy acc to vreg[192]
v_accvgpr_read_b32 v[vgprValuC+173], acc208 // copy acc to vreg[193]
v_accvgpr_read_b32 v[vgprValuC+174], acc224 // copy acc to vreg[194]
v_accvgpr_read_b32 v[vgprValuC+175], acc240 // copy acc to vreg[195]
v_accvgpr_read_b32 v[vgprValuC+180], acc193 // copy acc to vreg[196]
v_accvgpr_read_b32 v[vgprValuC+181], acc209 // copy acc to vreg[197]
v_accvgpr_read_b32 v[vgprValuC+182], acc225 // copy acc to vreg[198]
v_accvgpr_read_b32 v[vgprValuC+183], acc241 // copy acc to vreg[199]
v_accvgpr_read_b32 v[vgprValuC+188], acc194 // copy acc to vreg[200]
v_accvgpr_read_b32 v[vgprValuC+189], acc210 // copy acc to vreg[201]
v_accvgpr_read_b32 v[vgprValuC+190], acc226 // copy acc to vreg[202]
v_accvgpr_read_b32 v[vgprValuC+191], acc242 // copy acc to vreg[203]
v_accvgpr_read_b32 v[vgprValuC+196], acc195 // copy acc to vreg[204]
v_accvgpr_read_b32 v[vgprValuC+197], acc211 // copy acc to vreg[205]
v_accvgpr_read_b32 v[vgprValuC+198], acc227 // copy acc to vreg[206]
v_accvgpr_read_b32 v[vgprValuC+199], acc243 // copy acc to vreg[207]
v_accvgpr_read_b32 v[vgprValuC+204], acc196 // copy acc to vreg[208]
v_accvgpr_read_b32 v[vgprValuC+205], acc212 // copy acc to vreg[209]
v_accvgpr_read_b32 v[vgprValuC+206], acc228 // copy acc to vreg[210]
v_accvgpr_read_b32 v[vgprValuC+207], acc244 // copy acc to vreg[211]
v_accvgpr_read_b32 v[vgprValuC+212], acc197 // copy acc to vreg[212]
v_accvgpr_read_b32 v[vgprValuC+213], acc213 // copy acc to vreg[213]
v_accvgpr_read_b32 v[vgprValuC+214], acc229 // copy acc to vreg[214]
v_accvgpr_read_b32 v[vgprValuC+215], acc245 // copy acc to vreg[215]
v_accvgpr_read_b32 v[vgprValuC+220], acc198 // copy acc to vreg[216]
v_accvgpr_read_b32 v[vgprValuC+221], acc214 // copy acc to vreg[217]
v_accvgpr_read_b32 v[vgprValuC+222], acc230 // copy acc to vreg[218]
v_accvgpr_read_b32 v[vgprValuC+223], acc246 // copy acc to vreg[219]
v_accvgpr_read_b32 v[vgprValuC+228], acc199 // copy acc to vreg[220]
v_accvgpr_read_b32 v[vgprValuC+229], acc215 // copy acc to vreg[221]
v_accvgpr_read_b32 v[vgprValuC+230], acc231 // copy acc to vreg[222]
v_accvgpr_read_b32 v[vgprValuC+231], acc247 // copy acc to vreg[223]
v_accvgpr_read_b32 v[vgprValuC+236], acc200 // copy acc to vreg[224]
v_accvgpr_read_b32 v[vgprValuC+237], acc216 // copy acc to vreg[225]
v_accvgpr_read_b32 v[vgprValuC+238], acc232 // copy acc to vreg[226]
v_accvgpr_read_b32 v[vgprValuC+239], acc248 // copy acc to vreg[227]
v_accvgpr_read_b32 v[vgprValuC+244], acc201 // copy acc to vreg[228]
v_accvgpr_read_b32 v[vgprValuC+245], acc217 // copy acc to vreg[229]
v_accvgpr_read_b32 v[vgprValuC+246], acc233 // copy acc to vreg[230]
v_accvgpr_read_b32 v[vgprValuC+247], acc249 // copy acc to vreg[231]
s_nop 1                                            // 2 wait states required before reading vgpr

/* rC *= alpha batchElements=[(0, 3, 1, 4), (0, 3, 1, 8), (0, 3, 1, 12), (0, 0, 2, 0), (0, 0, 2, 4), (0, 0, 2, 8), (0, 0, 2, 12), (0, 1, 2, 0), (0, 1, 2, 4), (0, 1, 2, 8), (0, 1, 2, 12), (0, 2, 2, 0), (0, 2, 2, 4), (0, 2, 2, 8), (0, 2, 2, 12), (0, 3, 2, 0), (0, 3, 2, 4), (0, 3, 2, 8), (0, 3, 2, 12), (0, 0, 3, 0), (0, 0, 3, 4), (0, 0, 3, 8), (0, 0, 3, 12), (0, 1, 3, 0), (0, 1, 3, 4), (0, 1, 3, 8), (0, 1, 3, 12), (0, 2, 3, 0), (0, 2, 3, 4)] */
v_mul_lo_u32 v[vgprValuC+12], s[sgprAlpha], v[vgprValuC+12] // *= alpha
v_mul_lo_u32 v[vgprValuC+13], s[sgprAlpha], v[vgprValuC+13] // *= alpha
	;; [unrolled: 1-line block ×116, first 2 shown]

/* apply mask, calc new C and issue writes */

s_waitcnt vmcnt(28)                                // wait C (interleaved) 28 = 29 - 0 + 0 - 1
v_mul_lo_u32 v8, s[sgprBeta], v8                   // C = C*beta
_v_add_u32 v[vgprValuC+12], v8, v[vgprValuC+12]    // finalSum = sum*alpha + C*beta
v_mul_lo_u32 v9, s[sgprBeta], v9                   // C = C*beta
_v_add_u32 v[vgprValuC+13], v9, v[vgprValuC+13]    // finalSum = sum*alpha + C*beta
v_mul_lo_u32 v10, s[sgprBeta], v10                 // C = C*beta
_v_add_u32 v[vgprValuC+14], v10, v[vgprValuC+14]   // finalSum = sum*alpha + C*beta
v_mul_lo_u32 v11, s[sgprBeta], v11                 // C = C*beta
_v_add_u32 v[vgprValuC+15], v11, v[vgprValuC+15]   // finalSum = sum*alpha + C*beta
_buffer_store_b128 v[12:15], v6, s[sgprSrdD:sgprSrdD+3], 0, offen, offset:400 // store D

s_waitcnt vmcnt(28)                                // wait C (interleaved) 28 = 29 - 1 + 1 - 1
v_mul_lo_u32 v16, s[sgprBeta], v16                 // C = C*beta
_v_add_u32 v[vgprValuC+20], v16, v[vgprValuC+20]   // finalSum = sum*alpha + C*beta
v_mul_lo_u32 v17, s[sgprBeta], v17                 // C = C*beta
_v_add_u32 v[vgprValuC+21], v17, v[vgprValuC+21]   // finalSum = sum*alpha + C*beta
v_mul_lo_u32 v18, s[sgprBeta], v18                 // C = C*beta
_v_add_u32 v[vgprValuC+22], v18, v[vgprValuC+22]   // finalSum = sum*alpha + C*beta
v_mul_lo_u32 v19, s[sgprBeta], v19                 // C = C*beta
_v_add_u32 v[vgprValuC+23], v19, v[vgprValuC+23]   // finalSum = sum*alpha + C*beta
_buffer_store_b128 v[20:23], v6, s[sgprSrdD:sgprSrdD+3], 0, offen, offset:416 // store D

s_waitcnt vmcnt(28)                                // wait C (interleaved) 28 = 29 - 2 + 2 - 1
v_mul_lo_u32 v24, s[sgprBeta], v24                 // C = C*beta
_v_add_u32 v[vgprValuC+28], v24, v[vgprValuC+28]   // finalSum = sum*alpha + C*beta
v_mul_lo_u32 v25, s[sgprBeta], v25                 // C = C*beta
_v_add_u32 v[vgprValuC+29], v25, v[vgprValuC+29]   // finalSum = sum*alpha + C*beta
	;; [unrolled: 11-line block ×3, first 2 shown]
v_mul_lo_u32 v34, s[sgprBeta], v34                 // C = C*beta
_v_add_u32 v[vgprValuC+46], v34, v[vgprValuC+46]   // finalSum = sum*alpha + C*beta
v_mul_lo_u32 v35, s[sgprBeta], v35                 // C = C*beta
_v_add_u32 v[vgprValuC+47], v35, v[vgprValuC+47]   // finalSum = sum*alpha + C*beta
s_lshl_b32  s42, s[sgprStrideD1J], 2               // incToNextRow: Scale by BPE
s_add_u32  s[sgprSrdD+0], s[sgprSrdD+0], s42       // incToNextRow: gra SRD += inc(lower)
s_addc_u32  s[sgprSrdD+1], s[sgprSrdD+1], 0        // incToNextRow: gra SRD += inc(upper)
_buffer_store_b128 v[44:47], v6, s[sgprSrdD:sgprSrdD+3], 0, offen, offset:0 // store D

s_waitcnt vmcnt(28)                                // wait C (interleaved) 28 = 29 - 4 + 4 - 1
v_mul_lo_u32 v48, s[sgprBeta], v48                 // C = C*beta
_v_add_u32 v[vgprValuC+52], v48, v[vgprValuC+52]   // finalSum = sum*alpha + C*beta
v_mul_lo_u32 v49, s[sgprBeta], v49                 // C = C*beta
_v_add_u32 v[vgprValuC+53], v49, v[vgprValuC+53]   // finalSum = sum*alpha + C*beta
v_mul_lo_u32 v50, s[sgprBeta], v50                 // C = C*beta
_v_add_u32 v[vgprValuC+54], v50, v[vgprValuC+54]   // finalSum = sum*alpha + C*beta
v_mul_lo_u32 v51, s[sgprBeta], v51                 // C = C*beta
_v_add_u32 v[vgprValuC+55], v51, v[vgprValuC+55]   // finalSum = sum*alpha + C*beta
_buffer_store_b128 v[52:55], v6, s[sgprSrdD:sgprSrdD+3], 0, offen, offset:16 // store D

s_waitcnt vmcnt(28)                                // wait C (interleaved) 28 = 29 - 5 + 5 - 1
v_mul_lo_u32 v56, s[sgprBeta], v56                 // C = C*beta
_v_add_u32 v[vgprValuC+60], v56, v[vgprValuC+60]   // finalSum = sum*alpha + C*beta
v_mul_lo_u32 v57, s[sgprBeta], v57                 // C = C*beta
_v_add_u32 v[vgprValuC+61], v57, v[vgprValuC+61]   // finalSum = sum*alpha + C*beta
v_mul_lo_u32 v58, s[sgprBeta], v58                 // C = C*beta
_v_add_u32 v[vgprValuC+62], v58, v[vgprValuC+62]   // finalSum = sum*alpha + C*beta
v_mul_lo_u32 v59, s[sgprBeta], v59                 // C = C*beta
_v_add_u32 v[vgprValuC+63], v59, v[vgprValuC+63]   // finalSum = sum*alpha + C*beta
	;; [unrolled: 11-line block ×6, first 2 shown]
_buffer_store_b128 v[92:95], v6, s[sgprSrdD:sgprSrdD+3], 0, offen, offset:160 // store D

s_waitcnt vmcnt(28)                                // wait C (interleaved) 28 = 29 - 10 + 10 - 1
v_mul_lo_u32 v96, s[sgprBeta], v96                 // C = C*beta
_v_add_u32 v[vgprValuC+100], v96, v[vgprValuC+100] // finalSum = sum*alpha + C*beta
v_mul_lo_u32 v97, s[sgprBeta], v97                 // C = C*beta
_v_add_u32 v[vgprValuC+101], v97, v[vgprValuC+101] // finalSum = sum*alpha + C*beta
	;; [unrolled: 2-line block ×4, first 2 shown]
_buffer_store_b128 v[100:103], v6, s[sgprSrdD:sgprSrdD+3], 0, offen, offset:176 // store D

s_waitcnt vmcnt(28)                                // wait C (interleaved) 28 = 29 - 11 + 11 - 1
v_mul_lo_u32 v104, s[sgprBeta], v104               // C = C*beta
_v_add_u32 v[vgprValuC+108], v104, v[vgprValuC+108] // finalSum = sum*alpha + C*beta
v_mul_lo_u32 v105, s[sgprBeta], v105               // C = C*beta
_v_add_u32 v[vgprValuC+109], v105, v[vgprValuC+109] // finalSum = sum*alpha + C*beta
v_mul_lo_u32 v106, s[sgprBeta], v106               // C = C*beta
_v_add_u32 v[vgprValuC+110], v106, v[vgprValuC+110] // finalSum = sum*alpha + C*beta
v_mul_lo_u32 v107, s[sgprBeta], v107               // C = C*beta
_v_add_u32 v[vgprValuC+111], v107, v[vgprValuC+111] // finalSum = sum*alpha + C*beta
_buffer_store_b128 v[108:111], v6, s[sgprSrdD:sgprSrdD+3], 0, offen, offset:256 // store D

s_waitcnt vmcnt(28)                                // wait C (interleaved) 28 = 29 - 12 + 12 - 1
v_mul_lo_u32 v112, s[sgprBeta], v112               // C = C*beta
_v_add_u32 v[vgprValuC+116], v112, v[vgprValuC+116] // finalSum = sum*alpha + C*beta
v_mul_lo_u32 v113, s[sgprBeta], v113               // C = C*beta
_v_add_u32 v[vgprValuC+117], v113, v[vgprValuC+117] // finalSum = sum*alpha + C*beta
v_mul_lo_u32 v114, s[sgprBeta], v114               // C = C*beta
_v_add_u32 v[vgprValuC+118], v114, v[vgprValuC+118] // finalSum = sum*alpha + C*beta
v_mul_lo_u32 v115, s[sgprBeta], v115               // C = C*beta
_v_add_u32 v[vgprValuC+119], v115, v[vgprValuC+119] // finalSum = sum*alpha + C*beta
	;; [unrolled: 11-line block ×9, first 2 shown]
s_lshl_b32  s42, s[sgprStrideD1J], 2               // incToNextRow: Scale by BPE
s_add_u32  s[sgprSrdD+0], s[sgprSrdD+0], s42       // incToNextRow: gra SRD += inc(lower)
s_addc_u32  s[sgprSrdD+1], s[sgprSrdD+1], 0        // incToNextRow: gra SRD += inc(upper)
_buffer_store_b128 v[172:175], v6, s[sgprSrdD:sgprSrdD+3], 0, offen, offset:0 // store D

s_waitcnt vmcnt(28)                                // wait C (interleaved) 28 = 29 - 20 + 20 - 1
v_mul_lo_u32 v176, s[sgprBeta], v176               // C = C*beta
_v_add_u32 v[vgprValuC+180], v176, v[vgprValuC+180] // finalSum = sum*alpha + C*beta
v_mul_lo_u32 v177, s[sgprBeta], v177               // C = C*beta
_v_add_u32 v[vgprValuC+181], v177, v[vgprValuC+181] // finalSum = sum*alpha + C*beta
v_mul_lo_u32 v178, s[sgprBeta], v178               // C = C*beta
_v_add_u32 v[vgprValuC+182], v178, v[vgprValuC+182] // finalSum = sum*alpha + C*beta
v_mul_lo_u32 v179, s[sgprBeta], v179               // C = C*beta
_v_add_u32 v[vgprValuC+183], v179, v[vgprValuC+183] // finalSum = sum*alpha + C*beta
_buffer_store_b128 v[180:183], v6, s[sgprSrdD:sgprSrdD+3], 0, offen, offset:16 // store D

s_waitcnt vmcnt(28)                                // wait C (interleaved) 28 = 29 - 21 + 21 - 1
v_mul_lo_u32 v184, s[sgprBeta], v184               // C = C*beta
_v_add_u32 v[vgprValuC+188], v184, v[vgprValuC+188] // finalSum = sum*alpha + C*beta
v_mul_lo_u32 v185, s[sgprBeta], v185               // C = C*beta
_v_add_u32 v[vgprValuC+189], v185, v[vgprValuC+189] // finalSum = sum*alpha + C*beta
v_mul_lo_u32 v186, s[sgprBeta], v186               // C = C*beta
_v_add_u32 v[vgprValuC+190], v186, v[vgprValuC+190] // finalSum = sum*alpha + C*beta
v_mul_lo_u32 v187, s[sgprBeta], v187               // C = C*beta
_v_add_u32 v[vgprValuC+191], v187, v[vgprValuC+191] // finalSum = sum*alpha + C*beta
	;; [unrolled: 11-line block ×9, first 2 shown]
_buffer_store_b128 v[244:247], v6, s[sgprSrdD:sgprSrdD+3], 0, offen, offset:272 // store D
s_nop 0                                            // 1 wait state required when next inst writes vgprs held by previous dwordx4 store inst
/* optSingleColVgpr=1 optSharedColVgpr=0 optSGPRUsage=BufferLoad_Mask optSrdIncForRow=1 */

/******************************************/
/* Global Write Alpha Beta Batch #2 (d1,d0,vc1,vc0) = */
/*    (0,2,3,8:vw4); (0,2,3,12:vw4); (0,3,3,0:vw4); (0,3,3,4:vw4); (0,3,3,8:vw4); (0,3,3,12:vw4) */
/******************************************/

/* calc coords, apply mask, and issue loads (if necessary) */
/* (d1,vc1,d0,vc0)=(0,3,2,8) */
_buffer_load_b128 v[8:11], v7, s[sgprSrdC:sgprSrdC+3], 0, offen offset:288 // load C for beta calc
/* (d1,vc1,d0,vc0)=(0,3,2,12) */
_buffer_load_b128 v[16:19], v7, s[sgprSrdC:sgprSrdC+3], 0, offen offset:304 // load C for beta calc
	;; [unrolled: 2-line block ×6, first 2 shown]
v_accvgpr_read_b32 v[vgprValuC+12], acc202 // copy acc to vreg[232]
v_accvgpr_read_b32 v[vgprValuC+13], acc218 // copy acc to vreg[233]
v_accvgpr_read_b32 v[vgprValuC+14], acc234 // copy acc to vreg[234]
v_accvgpr_read_b32 v[vgprValuC+15], acc250 // copy acc to vreg[235]
v_accvgpr_read_b32 v[vgprValuC+20], acc203 // copy acc to vreg[236]
v_accvgpr_read_b32 v[vgprValuC+21], acc219 // copy acc to vreg[237]
v_accvgpr_read_b32 v[vgprValuC+22], acc235 // copy acc to vreg[238]
v_accvgpr_read_b32 v[vgprValuC+23], acc251 // copy acc to vreg[239]
v_accvgpr_read_b32 v[vgprValuC+28], acc204 // copy acc to vreg[240]
v_accvgpr_read_b32 v[vgprValuC+29], acc220 // copy acc to vreg[241]
v_accvgpr_read_b32 v[vgprValuC+30], acc236 // copy acc to vreg[242]
v_accvgpr_read_b32 v[vgprValuC+31], acc252 // copy acc to vreg[243]
v_accvgpr_read_b32 v[vgprValuC+44], acc205 // copy acc to vreg[244]
v_accvgpr_read_b32 v[vgprValuC+45], acc221 // copy acc to vreg[245]
v_accvgpr_read_b32 v[vgprValuC+46], acc237 // copy acc to vreg[246]
v_accvgpr_read_b32 v[vgprValuC+47], acc253 // copy acc to vreg[247]
v_accvgpr_read_b32 v[vgprValuC+52], acc206 // copy acc to vreg[248]
v_accvgpr_read_b32 v[vgprValuC+53], acc222 // copy acc to vreg[249]
v_accvgpr_read_b32 v[vgprValuC+54], acc238 // copy acc to vreg[250]
v_accvgpr_read_b32 v[vgprValuC+55], acc254 // copy acc to vreg[251]
v_accvgpr_read_b32 v[vgprValuC+60], acc207 // copy acc to vreg[252]
v_accvgpr_read_b32 v[vgprValuC+61], acc223 // copy acc to vreg[253]
v_accvgpr_read_b32 v[vgprValuC+62], acc239 // copy acc to vreg[254]
v_accvgpr_read_b32 v[vgprValuC+63], acc255 // copy acc to vreg[255]
s_nop 1                                            // 2 wait states required before reading vgpr

/* rC *= alpha batchElements=[(0, 2, 3, 8), (0, 2, 3, 12), (0, 3, 3, 0), (0, 3, 3, 4), (0, 3, 3, 8), (0, 3, 3, 12)] */
v_mul_lo_u32 v[vgprValuC+12], s[sgprAlpha], v[vgprValuC+12] // *= alpha
v_mul_lo_u32 v[vgprValuC+13], s[sgprAlpha], v[vgprValuC+13] // *= alpha
	;; [unrolled: 1-line block ×24, first 2 shown]

/* apply mask, calc new C and issue writes */

s_waitcnt vmcnt(5)                                 // wait C (interleaved) 5 = 6 - 0 + 0 - 1
v_mul_lo_u32 v8, s[sgprBeta], v8                   // C = C*beta
_v_add_u32 v[vgprValuC+12], v8, v[vgprValuC+12]    // finalSum = sum*alpha + C*beta
v_mul_lo_u32 v9, s[sgprBeta], v9                   // C = C*beta
_v_add_u32 v[vgprValuC+13], v9, v[vgprValuC+13]    // finalSum = sum*alpha + C*beta
v_mul_lo_u32 v10, s[sgprBeta], v10                 // C = C*beta
_v_add_u32 v[vgprValuC+14], v10, v[vgprValuC+14]   // finalSum = sum*alpha + C*beta
v_mul_lo_u32 v11, s[sgprBeta], v11                 // C = C*beta
_v_add_u32 v[vgprValuC+15], v11, v[vgprValuC+15]   // finalSum = sum*alpha + C*beta
_buffer_store_b128 v[12:15], v6, s[sgprSrdD:sgprSrdD+3], 0, offen, offset:288 // store D

s_waitcnt vmcnt(5)                                 // wait C (interleaved) 5 = 6 - 1 + 1 - 1
v_mul_lo_u32 v16, s[sgprBeta], v16                 // C = C*beta
_v_add_u32 v[vgprValuC+20], v16, v[vgprValuC+20]   // finalSum = sum*alpha + C*beta
v_mul_lo_u32 v17, s[sgprBeta], v17                 // C = C*beta
_v_add_u32 v[vgprValuC+21], v17, v[vgprValuC+21]   // finalSum = sum*alpha + C*beta
v_mul_lo_u32 v18, s[sgprBeta], v18                 // C = C*beta
_v_add_u32 v[vgprValuC+22], v18, v[vgprValuC+22]   // finalSum = sum*alpha + C*beta
v_mul_lo_u32 v19, s[sgprBeta], v19                 // C = C*beta
_v_add_u32 v[vgprValuC+23], v19, v[vgprValuC+23]   // finalSum = sum*alpha + C*beta
_buffer_store_b128 v[20:23], v6, s[sgprSrdD:sgprSrdD+3], 0, offen, offset:304 // store D

s_waitcnt vmcnt(5)                                 // wait C (interleaved) 5 = 6 - 2 + 2 - 1
v_mul_lo_u32 v24, s[sgprBeta], v24                 // C = C*beta
_v_add_u32 v[vgprValuC+28], v24, v[vgprValuC+28]   // finalSum = sum*alpha + C*beta
v_mul_lo_u32 v25, s[sgprBeta], v25                 // C = C*beta
_v_add_u32 v[vgprValuC+29], v25, v[vgprValuC+29]   // finalSum = sum*alpha + C*beta
	;; [unrolled: 11-line block ×5, first 2 shown]
v_mul_lo_u32 v58, s[sgprBeta], v58                 // C = C*beta
_v_add_u32 v[vgprValuC+62], v58, v[vgprValuC+62]   // finalSum = sum*alpha + C*beta
v_mul_lo_u32 v59, s[sgprBeta], v59                 // C = C*beta
_v_add_u32 v[vgprValuC+63], v59, v[vgprValuC+63]   // finalSum = sum*alpha + C*beta
_buffer_store_b128 v[60:63], v6, s[sgprSrdD:sgprSrdD+3], 0, offen, offset:432 // store D
s_nop 0                                            // 1 wait state required when next inst writes vgprs held by previous dwordx4 store inst
s_branch label_GW_End_238                          // jump to end
GW_B1_E1_237:

/* edge=1, allocate 6 sgpr. perBatchTmpS=4 perBatchMaskS=2 perElementMaskS=0 elementsPerBatch=26 */
/* optSingleColVgpr=0 optSharedColVgpr=0 optSGPRUsage=BufferLoad_Edge_Mask optSrdIncForRow=0 */

/******************************************/
/* Global Write Alpha Beta Edge Batch #0 (d1,d0,vc1,vc0) = */
/*    (0,0,0,0:vw4); (0,0,0,4:vw4); (0,0,0,8:vw4); (0,0,0,12:vw4); (0,1,0,0:vw4); (0,1,0,4:vw4); (0,1,0,8:vw4); (0,1,0,12:vw4); (0,2,0,0:vw4); (0,2,0,4:vw4); (0,2,0,8:vw4); (0,2,0,12:vw4); (0,3,0,0:vw4); (0,3,0,4:vw4); (0,3,0,8:vw4); (0,3,0,12:vw4); (0,0,1,0:vw4); (0,0,1,4:vw4); (0,0,1,8:vw4); (0,0,1,12:vw4); (0,1,1,0:vw4); (0,1,1,4:vw4); (0,1,1,8:vw4); (0,1,1,12:vw4); (0,2,1,0:vw4); (0,2,1,4:vw4) */
/******************************************/

/* calc coords, apply mask, and issue loads (if necessary) */
/* (d1,vc1,d0,vc0)=(0,0,0,0) */
v_cmp_lt_u32 s[64:65], v0, s[sgprSizeI]            // coord0 < size0
v_cmp_lt_u32 s[68:69], v1, s[sgprSizeJ]            // coord1 < size1
s_and_b64 s[68:69], s[64:65], s[68:69]             // in0 && in1
_v_add_lshl_u32 v6, v2, v0, 0x2                    // scaleToBpe: accumulate d0 lower and *= bpe into Cin addr
v_cndmask_b32 v6, -1, v6, s[68:69]                 // LDC clip if OOB. offset
_buffer_load_b128 v[8:11], v6, s[sgprSrdC:sgprSrdC+3], 0, offen offset:0 // load C for beta calc
_v_add_lshl_u32 v6, v3, v0, 0x2                    // scaleToBpe: accumulate d0 lower and *= bpe into Cin addr
v_cndmask_b32 v6, -1, v6, s[68:69]                 // LDD clip if OOB. offset
/* (d1,vc1,d0,vc0)=(0,0,0,4) */
_v_add_co_u32 v4, vcc, v0, 4                       // coord0.1: coord0 += d0*sg0*VW + vc0
v_cmp_lt_u32 s[64:65], v4, s[sgprSizeI]            // coord0 < size0
v_cmp_lt_u32 s[68:69], v1, s[sgprSizeJ]            // coord1 < size1
s_and_b64 s[68:69], s[64:65], s[68:69]             // in0 && in1
_v_add_lshl_u32 v7, v2, v4, 0x2                    // scaleToBpe: accumulate d0 lower and *= bpe into Cin addr
v_cndmask_b32 v7, -1, v7, s[68:69]                 // LDC clip if OOB. offset
_buffer_load_b128 v[16:19], v7, s[sgprSrdC:sgprSrdC+3], 0, offen offset:0 // load C for beta calc
_v_add_lshl_u32 v7, v3, v4, 0x2                    // scaleToBpe: accumulate d0 lower and *= bpe into Cin addr
v_cndmask_b32 v7, -1, v7, s[68:69]                 // LDD clip if OOB. offset
/* (d1,vc1,d0,vc0)=(0,0,0,8) */
_v_add_co_u32 v4, vcc, v0, 8                       // coord0.1: coord0 += d0*sg0*VW + vc0
v_cmp_lt_u32 s[64:65], v4, s[sgprSizeI]            // coord0 < size0
v_cmp_lt_u32 s[68:69], v1, s[sgprSizeJ]            // coord1 < size1
s_and_b64 s[68:69], s[64:65], s[68:69]             // in0 && in1
_v_add_lshl_u32 v24, v2, v4, 0x2                   // scaleToBpe: accumulate d0 lower and *= bpe into Cin addr
v_cndmask_b32 v24, -1, v24, s[68:69]               // LDC clip if OOB. offset
_buffer_load_b128 v[28:31], v24, s[sgprSrdC:sgprSrdC+3], 0, offen offset:0 // load C for beta calc
_v_add_lshl_u32 v24, v3, v4, 0x2                   // scaleToBpe: accumulate d0 lower and *= bpe into Cin addr
v_cndmask_b32 v24, -1, v24, s[68:69]               // LDD clip if OOB. offset
/* (d1,vc1,d0,vc0)=(0,0,0,12) */
_v_add_co_u32 v4, vcc, v0, 12                      // coord0.1: coord0 += d0*sg0*VW + vc0
v_cmp_lt_u32 s[64:65], v4, s[sgprSizeI]            // coord0 < size0
v_cmp_lt_u32 s[68:69], v1, s[sgprSizeJ]            // coord1 < size1
s_and_b64 s[68:69], s[64:65], s[68:69]             // in0 && in1
_v_add_lshl_u32 v25, v2, v4, 0x2                   // scaleToBpe: accumulate d0 lower and *= bpe into Cin addr
v_cndmask_b32 v25, -1, v25, s[68:69]               // LDC clip if OOB. offset
_buffer_load_b128 v[44:47], v25, s[sgprSrdC:sgprSrdC+3], 0, offen offset:0 // load C for beta calc
_v_add_lshl_u32 v25, v3, v4, 0x2                   // scaleToBpe: accumulate d0 lower and *= bpe into Cin addr
v_cndmask_b32 v25, -1, v25, s[68:69]               // LDD clip if OOB. offset
/* (d1,vc1,d0,vc0)=(0,0,1,0) */
_v_add_co_u32 v4, vcc, v0, 32                      // coord0.1: coord0 += d0*sg0*VW + vc0
	;; [unrolled: 10-line block ×6, first 2 shown]
v_cmp_lt_u32 s[64:65], v4, s[sgprSizeI]            // coord0 < size0
v_cmp_lt_u32 s[68:69], v1, s[sgprSizeJ]            // coord1 < size1
s_and_b64 s[68:69], s[64:65], s[68:69]             // in0 && in1
_v_add_lshl_u32 v41, v2, v4, 0x2                   // scaleToBpe: accumulate d0 lower and *= bpe into Cin addr
v_cndmask_b32 v41, -1, v41, s[68:69]               // LDC clip if OOB. offset
_buffer_load_b128 v[84:87], v41, s[sgprSrdC:sgprSrdC+3], 0, offen offset:0 // load C for beta calc
_v_add_lshl_u32 v41, v3, v4, 0x2                   // scaleToBpe: accumulate d0 lower and *= bpe into Cin addr
v_cndmask_b32 v41, -1, v41, s[68:69]               // LDD clip if OOB. offset
/* (d1,vc1,d0,vc0)=(0,0,2,4) */
s_mov_b32 s64, 68                                  // coordOffset0 d0=2 vc0=4
_v_add_co_u32 v4, vcc, v0, s64                     // coord0.2: coord0 += d0*sg0*VW + vc0
v_cmp_lt_u32 s[64:65], v4, s[sgprSizeI]            // coord0 < size0
v_cmp_lt_u32 s[68:69], v1, s[sgprSizeJ]            // coord1 < size1
s_and_b64 s[68:69], s[64:65], s[68:69]             // in0 && in1
_v_add_lshl_u32 v42, v2, v4, 0x2                   // scaleToBpe: accumulate d0 lower and *= bpe into Cin addr
v_cndmask_b32 v42, -1, v42, s[68:69]               // LDC clip if OOB. offset
_buffer_load_b128 v[92:95], v42, s[sgprSrdC:sgprSrdC+3], 0, offen offset:0 // load C for beta calc
_v_add_lshl_u32 v42, v3, v4, 0x2                   // scaleToBpe: accumulate d0 lower and *= bpe into Cin addr
v_cndmask_b32 v42, -1, v42, s[68:69]               // LDD clip if OOB. offset
/* (d1,vc1,d0,vc0)=(0,0,2,8) */
s_mov_b32 s64, 72                                  // coordOffset0 d0=2 vc0=8
_v_add_co_u32 v4, vcc, v0, s64                     // coord0.2: coord0 += d0*sg0*VW + vc0
v_cmp_lt_u32 s[64:65], v4, s[sgprSizeI]            // coord0 < size0
v_cmp_lt_u32 s[68:69], v1, s[sgprSizeJ]            // coord1 < size1
s_and_b64 s[68:69], s[64:65], s[68:69]             // in0 && in1
_v_add_lshl_u32 v43, v2, v4, 0x2                   // scaleToBpe: accumulate d0 lower and *= bpe into Cin addr
v_cndmask_b32 v43, -1, v43, s[68:69]               // LDC clip if OOB. offset
_buffer_load_b128 v[100:103], v43, s[sgprSrdC:sgprSrdC+3], 0, offen offset:0 // load C for beta calc
_v_add_lshl_u32 v43, v3, v4, 0x2                   // scaleToBpe: accumulate d0 lower and *= bpe into Cin addr
v_cndmask_b32 v43, -1, v43, s[68:69]               // LDD clip if OOB. offset
/* (d1,vc1,d0,vc0)=(0,0,2,12) */
s_mov_b32 s64, 76                                  // coordOffset0 d0=2 vc0=12
_v_add_co_u32 v4, vcc, v0, s64                     // coord0.2: coord0 += d0*sg0*VW + vc0
v_cmp_lt_u32 s[64:65], v4, s[sgprSizeI]            // coord0 < size0
v_cmp_lt_u32 s[68:69], v1, s[sgprSizeJ]            // coord1 < size1
s_and_b64 s[68:69], s[64:65], s[68:69]             // in0 && in1
_v_add_lshl_u32 v108, v2, v4, 0x2                  // scaleToBpe: accumulate d0 lower and *= bpe into Cin addr
v_cndmask_b32 v108, -1, v108, s[68:69]             // LDC clip if OOB. offset
_buffer_load_b128 v[112:115], v108, s[sgprSrdC:sgprSrdC+3], 0, offen offset:0 // load C for beta calc
_v_add_lshl_u32 v108, v3, v4, 0x2                  // scaleToBpe: accumulate d0 lower and *= bpe into Cin addr
v_cndmask_b32 v108, -1, v108, s[68:69]             // LDD clip if OOB. offset
/* (d1,vc1,d0,vc0)=(0,0,3,0) */
s_mov_b32 s64, 96                                  // coordOffset0 d0=3 vc0=0
_v_add_co_u32 v4, vcc, v0, s64                     // coord0.2: coord0 += d0*sg0*VW + vc0
v_cmp_lt_u32 s[64:65], v4, s[sgprSizeI]            // coord0 < size0
v_cmp_lt_u32 s[68:69], v1, s[sgprSizeJ]            // coord1 < size1
s_and_b64 s[68:69], s[64:65], s[68:69]             // in0 && in1
_v_add_lshl_u32 v109, v2, v4, 0x2                  // scaleToBpe: accumulate d0 lower and *= bpe into Cin addr
v_cndmask_b32 v109, -1, v109, s[68:69]             // LDC clip if OOB. offset
_buffer_load_b128 v[120:123], v109, s[sgprSrdC:sgprSrdC+3], 0, offen offset:0 // load C for beta calc
_v_add_lshl_u32 v109, v3, v4, 0x2                  // scaleToBpe: accumulate d0 lower and *= bpe into Cin addr
v_cndmask_b32 v109, -1, v109, s[68:69]             // LDD clip if OOB. offset
/* (d1,vc1,d0,vc0)=(0,0,3,4) */
s_mov_b32 s64, 100                                 // coordOffset0 d0=3 vc0=4
_v_add_co_u32 v4, vcc, v0, s64                     // coord0.2: coord0 += d0*sg0*VW + vc0
v_cmp_lt_u32 s[64:65], v4, s[sgprSizeI]            // coord0 < size0
v_cmp_lt_u32 s[68:69], v1, s[sgprSizeJ]            // coord1 < size1
s_and_b64 s[68:69], s[64:65], s[68:69]             // in0 && in1
_v_add_lshl_u32 v110, v2, v4, 0x2                  // scaleToBpe: accumulate d0 lower and *= bpe into Cin addr
v_cndmask_b32 v110, -1, v110, s[68:69]             // LDC clip if OOB. offset
_buffer_load_b128 v[128:131], v110, s[sgprSrdC:sgprSrdC+3], 0, offen offset:0 // load C for beta calc
_v_add_lshl_u32 v110, v3, v4, 0x2                  // scaleToBpe: accumulate d0 lower and *= bpe into Cin addr
v_cndmask_b32 v110, -1, v110, s[68:69]             // LDD clip if OOB. offset
/* (d1,vc1,d0,vc0)=(0,0,3,8) */
s_mov_b32 s64, 104                                 // coordOffset0 d0=3 vc0=8
	;; [unrolled: 11-line block ×3, first 2 shown]
_v_add_co_u32 v4, vcc, v0, s64                     // coord0.2: coord0 += d0*sg0*VW + vc0
v_cmp_lt_u32 s[64:65], v4, s[sgprSizeI]            // coord0 < size0
v_cmp_lt_u32 s[68:69], v1, s[sgprSizeJ]            // coord1 < size1
s_and_b64 s[68:69], s[64:65], s[68:69]             // in0 && in1
_v_add_lshl_u32 v144, v2, v4, 0x2                  // scaleToBpe: accumulate d0 lower and *= bpe into Cin addr
v_cndmask_b32 v144, -1, v144, s[68:69]             // LDC clip if OOB. offset
_buffer_load_b128 v[148:151], v144, s[sgprSrdC:sgprSrdC+3], 0, offen offset:0 // load C for beta calc
_v_add_lshl_u32 v144, v3, v4, 0x2                  // scaleToBpe: accumulate d0 lower and *= bpe into Cin addr
v_cndmask_b32 v144, -1, v144, s[68:69]             // LDD clip if OOB. offset
/* (d1,vc1,d0,vc0)=(0,1,0,0) */
_v_add_co_u32 v1, vcc, v1, 1                       // coord1.1: coord1Vgpr += d1*sg1*VW + vc1

/* Fix for UseInitialStridesCD, emitAddressSetupCode */
_v_add_u32 v2, v2, s[sgprStrideC1J]                // ROWINC- Move cinRowPtr to next row
_v_add_u32 v3, v3, s[sgprStrideD1J]                // Move coutRowPtr to next row
v_cmp_lt_u32 s[64:65], v0, s[sgprSizeI]            // coord0 < size0
v_cmp_lt_u32 s[68:69], v1, s[sgprSizeJ]            // coord1 < size1
s_and_b64 s[68:69], s[64:65], s[68:69]             // in0 && in1
_v_add_lshl_u32 v145, v2, v0, 0x2                  // scaleToBpe: accumulate d0 lower and *= bpe into Cin addr
v_cndmask_b32 v145, -1, v145, s[68:69]             // LDC clip if OOB. offset
_buffer_load_b128 v[156:159], v145, s[sgprSrdC:sgprSrdC+3], 0, offen offset:0 // load C for beta calc
_v_add_lshl_u32 v145, v3, v0, 0x2                  // scaleToBpe: accumulate d0 lower and *= bpe into Cin addr
v_cndmask_b32 v145, -1, v145, s[68:69]             // LDD clip if OOB. offset
/* (d1,vc1,d0,vc0)=(0,1,0,4) */
_v_add_co_u32 v4, vcc, v0, 4                       // coord0.1: coord0 += d0*sg0*VW + vc0
v_cmp_lt_u32 s[64:65], v4, s[sgprSizeI]            // coord0 < size0
v_cmp_lt_u32 s[68:69], v1, s[sgprSizeJ]            // coord1 < size1
s_and_b64 s[68:69], s[64:65], s[68:69]             // in0 && in1
_v_add_lshl_u32 v146, v2, v4, 0x2                  // scaleToBpe: accumulate d0 lower and *= bpe into Cin addr
v_cndmask_b32 v146, -1, v146, s[68:69]             // LDC clip if OOB. offset
_buffer_load_b128 v[164:167], v146, s[sgprSrdC:sgprSrdC+3], 0, offen offset:0 // load C for beta calc
_v_add_lshl_u32 v146, v3, v4, 0x2                  // scaleToBpe: accumulate d0 lower and *= bpe into Cin addr
v_cndmask_b32 v146, -1, v146, s[68:69]             // LDD clip if OOB. offset
/* (d1,vc1,d0,vc0)=(0,1,0,8) */
_v_add_co_u32 v4, vcc, v0, 8                       // coord0.1: coord0 += d0*sg0*VW + vc0
v_cmp_lt_u32 s[64:65], v4, s[sgprSizeI]            // coord0 < size0
v_cmp_lt_u32 s[68:69], v1, s[sgprSizeJ]            // coord1 < size1
s_and_b64 s[68:69], s[64:65], s[68:69]             // in0 && in1
_v_add_lshl_u32 v147, v2, v4, 0x2                  // scaleToBpe: accumulate d0 lower and *= bpe into Cin addr
v_cndmask_b32 v147, -1, v147, s[68:69]             // LDC clip if OOB. offset
_buffer_load_b128 v[172:175], v147, s[sgprSrdC:sgprSrdC+3], 0, offen offset:0 // load C for beta calc
_v_add_lshl_u32 v147, v3, v4, 0x2                  // scaleToBpe: accumulate d0 lower and *= bpe into Cin addr
v_cndmask_b32 v147, -1, v147, s[68:69]             // LDD clip if OOB. offset
/* (d1,vc1,d0,vc0)=(0,1,0,12) */
_v_add_co_u32 v4, vcc, v0, 12                      // coord0.1: coord0 += d0*sg0*VW + vc0
v_cmp_lt_u32 s[64:65], v4, s[sgprSizeI]            // coord0 < size0
v_cmp_lt_u32 s[68:69], v1, s[sgprSizeJ]            // coord1 < size1
s_and_b64 s[68:69], s[64:65], s[68:69]             // in0 && in1
_v_add_lshl_u32 v180, v2, v4, 0x2                  // scaleToBpe: accumulate d0 lower and *= bpe into Cin addr
v_cndmask_b32 v180, -1, v180, s[68:69]             // LDC clip if OOB. offset
_buffer_load_b128 v[184:187], v180, s[sgprSrdC:sgprSrdC+3], 0, offen offset:0 // load C for beta calc
_v_add_lshl_u32 v180, v3, v4, 0x2                  // scaleToBpe: accumulate d0 lower and *= bpe into Cin addr
v_cndmask_b32 v180, -1, v180, s[68:69]             // LDD clip if OOB. offset
/* (d1,vc1,d0,vc0)=(0,1,1,0) */
_v_add_co_u32 v4, vcc, v0, 32                      // coord0.1: coord0 += d0*sg0*VW + vc0
	;; [unrolled: 10-line block ×6, first 2 shown]
v_cmp_lt_u32 s[64:65], v4, s[sgprSizeI]            // coord0 < size0
v_cmp_lt_u32 s[68:69], v1, s[sgprSizeJ]            // coord1 < size1
s_and_b64 s[68:69], s[64:65], s[68:69]             // in0 && in1
_v_add_lshl_u32 v217, v2, v4, 0x2                  // scaleToBpe: accumulate d0 lower and *= bpe into Cin addr
v_cndmask_b32 v217, -1, v217, s[68:69]             // LDC clip if OOB. offset
_buffer_load_b128 v[228:231], v217, s[sgprSrdC:sgprSrdC+3], 0, offen offset:0 // load C for beta calc
_v_add_lshl_u32 v217, v3, v4, 0x2                  // scaleToBpe: accumulate d0 lower and *= bpe into Cin addr
v_cndmask_b32 v217, -1, v217, s[68:69]             // LDD clip if OOB. offset
/* (d1,vc1,d0,vc0)=(0,1,2,4) */
s_mov_b32 s64, 68                                  // coordOffset0 d0=2 vc0=4
_v_add_co_u32 v4, vcc, v0, s64                     // coord0.2: coord0 += d0*sg0*VW + vc0
v_cmp_lt_u32 s[64:65], v4, s[sgprSizeI]            // coord0 < size0
v_cmp_lt_u32 s[68:69], v1, s[sgprSizeJ]            // coord1 < size1
s_and_b64 s[68:69], s[64:65], s[68:69]             // in0 && in1
_v_add_lshl_u32 v218, v2, v4, 0x2                  // scaleToBpe: accumulate d0 lower and *= bpe into Cin addr
v_cndmask_b32 v218, -1, v218, s[68:69]             // LDC clip if OOB. offset
_buffer_load_b128 v[236:239], v218, s[sgprSrdC:sgprSrdC+3], 0, offen offset:0 // load C for beta calc
_v_add_lshl_u32 v218, v3, v4, 0x2                  // scaleToBpe: accumulate d0 lower and *= bpe into Cin addr
v_cndmask_b32 v218, -1, v218, s[68:69]             // LDD clip if OOB. offset
v_accvgpr_read_b32 v[vgprValuC+12], acc0 // copy acc to vreg[0]
v_accvgpr_read_b32 v[vgprValuC+13], acc16 // copy acc to vreg[1]
v_accvgpr_read_b32 v[vgprValuC+14], acc32 // copy acc to vreg[2]
v_accvgpr_read_b32 v[vgprValuC+15], acc48 // copy acc to vreg[3]
v_accvgpr_read_b32 v[vgprValuC+20], acc1 // copy acc to vreg[4]
v_accvgpr_read_b32 v[vgprValuC+21], acc17 // copy acc to vreg[5]
v_accvgpr_read_b32 v[vgprValuC+22], acc33 // copy acc to vreg[6]
v_accvgpr_read_b32 v[vgprValuC+23], acc49 // copy acc to vreg[7]
v_accvgpr_read_b32 v[vgprValuC+32], acc2 // copy acc to vreg[8]
v_accvgpr_read_b32 v[vgprValuC+33], acc18 // copy acc to vreg[9]
v_accvgpr_read_b32 v[vgprValuC+34], acc34 // copy acc to vreg[10]
v_accvgpr_read_b32 v[vgprValuC+35], acc50 // copy acc to vreg[11]
v_accvgpr_read_b32 v[vgprValuC+48], acc3 // copy acc to vreg[12]
v_accvgpr_read_b32 v[vgprValuC+49], acc19 // copy acc to vreg[13]
v_accvgpr_read_b32 v[vgprValuC+50], acc35 // copy acc to vreg[14]
v_accvgpr_read_b32 v[vgprValuC+51], acc51 // copy acc to vreg[15]
v_accvgpr_read_b32 v[vgprValuC+56], acc4 // copy acc to vreg[16]
v_accvgpr_read_b32 v[vgprValuC+57], acc20 // copy acc to vreg[17]
v_accvgpr_read_b32 v[vgprValuC+58], acc36 // copy acc to vreg[18]
v_accvgpr_read_b32 v[vgprValuC+59], acc52 // copy acc to vreg[19]
v_accvgpr_read_b32 v[vgprValuC+64], acc5 // copy acc to vreg[20]
v_accvgpr_read_b32 v[vgprValuC+65], acc21 // copy acc to vreg[21]
v_accvgpr_read_b32 v[vgprValuC+66], acc37 // copy acc to vreg[22]
v_accvgpr_read_b32 v[vgprValuC+67], acc53 // copy acc to vreg[23]
v_accvgpr_read_b32 v[vgprValuC+72], acc6 // copy acc to vreg[24]
v_accvgpr_read_b32 v[vgprValuC+73], acc22 // copy acc to vreg[25]
v_accvgpr_read_b32 v[vgprValuC+74], acc38 // copy acc to vreg[26]
v_accvgpr_read_b32 v[vgprValuC+75], acc54 // copy acc to vreg[27]
v_accvgpr_read_b32 v[vgprValuC+80], acc7 // copy acc to vreg[28]
v_accvgpr_read_b32 v[vgprValuC+81], acc23 // copy acc to vreg[29]
v_accvgpr_read_b32 v[vgprValuC+82], acc39 // copy acc to vreg[30]
v_accvgpr_read_b32 v[vgprValuC+83], acc55 // copy acc to vreg[31]
v_accvgpr_read_b32 v[vgprValuC+88], acc8 // copy acc to vreg[32]
v_accvgpr_read_b32 v[vgprValuC+89], acc24 // copy acc to vreg[33]
v_accvgpr_read_b32 v[vgprValuC+90], acc40 // copy acc to vreg[34]
v_accvgpr_read_b32 v[vgprValuC+91], acc56 // copy acc to vreg[35]
v_accvgpr_read_b32 v[vgprValuC+96], acc9 // copy acc to vreg[36]
v_accvgpr_read_b32 v[vgprValuC+97], acc25 // copy acc to vreg[37]
v_accvgpr_read_b32 v[vgprValuC+98], acc41 // copy acc to vreg[38]
v_accvgpr_read_b32 v[vgprValuC+99], acc57 // copy acc to vreg[39]
v_accvgpr_read_b32 v[vgprValuC+104], acc10 // copy acc to vreg[40]
v_accvgpr_read_b32 v[vgprValuC+105], acc26 // copy acc to vreg[41]
v_accvgpr_read_b32 v[vgprValuC+106], acc42 // copy acc to vreg[42]
v_accvgpr_read_b32 v[vgprValuC+107], acc58 // copy acc to vreg[43]
v_accvgpr_read_b32 v[vgprValuC+116], acc11 // copy acc to vreg[44]
v_accvgpr_read_b32 v[vgprValuC+117], acc27 // copy acc to vreg[45]
v_accvgpr_read_b32 v[vgprValuC+118], acc43 // copy acc to vreg[46]
v_accvgpr_read_b32 v[vgprValuC+119], acc59 // copy acc to vreg[47]
v_accvgpr_read_b32 v[vgprValuC+124], acc12 // copy acc to vreg[48]
v_accvgpr_read_b32 v[vgprValuC+125], acc28 // copy acc to vreg[49]
v_accvgpr_read_b32 v[vgprValuC+126], acc44 // copy acc to vreg[50]
v_accvgpr_read_b32 v[vgprValuC+127], acc60 // copy acc to vreg[51]
v_accvgpr_read_b32 v[vgprValuC+132], acc13 // copy acc to vreg[52]
v_accvgpr_read_b32 v[vgprValuC+133], acc29 // copy acc to vreg[53]
v_accvgpr_read_b32 v[vgprValuC+134], acc45 // copy acc to vreg[54]
v_accvgpr_read_b32 v[vgprValuC+135], acc61 // copy acc to vreg[55]
v_accvgpr_read_b32 v[vgprValuC+140], acc14 // copy acc to vreg[56]
v_accvgpr_read_b32 v[vgprValuC+141], acc30 // copy acc to vreg[57]
v_accvgpr_read_b32 v[vgprValuC+142], acc46 // copy acc to vreg[58]
v_accvgpr_read_b32 v[vgprValuC+143], acc62 // copy acc to vreg[59]
v_accvgpr_read_b32 v[vgprValuC+152], acc15 // copy acc to vreg[60]
v_accvgpr_read_b32 v[vgprValuC+153], acc31 // copy acc to vreg[61]
v_accvgpr_read_b32 v[vgprValuC+154], acc47 // copy acc to vreg[62]
v_accvgpr_read_b32 v[vgprValuC+155], acc63 // copy acc to vreg[63]
v_accvgpr_read_b32 v[vgprValuC+160], acc64 // copy acc to vreg[64]
v_accvgpr_read_b32 v[vgprValuC+161], acc80 // copy acc to vreg[65]
v_accvgpr_read_b32 v[vgprValuC+162], acc96 // copy acc to vreg[66]
v_accvgpr_read_b32 v[vgprValuC+163], acc112 // copy acc to vreg[67]
v_accvgpr_read_b32 v[vgprValuC+168], acc65 // copy acc to vreg[68]
v_accvgpr_read_b32 v[vgprValuC+169], acc81 // copy acc to vreg[69]
v_accvgpr_read_b32 v[vgprValuC+170], acc97 // copy acc to vreg[70]
v_accvgpr_read_b32 v[vgprValuC+171], acc113 // copy acc to vreg[71]
v_accvgpr_read_b32 v[vgprValuC+176], acc66 // copy acc to vreg[72]
v_accvgpr_read_b32 v[vgprValuC+177], acc82 // copy acc to vreg[73]
v_accvgpr_read_b32 v[vgprValuC+178], acc98 // copy acc to vreg[74]
v_accvgpr_read_b32 v[vgprValuC+179], acc114 // copy acc to vreg[75]
v_accvgpr_read_b32 v[vgprValuC+188], acc67 // copy acc to vreg[76]
v_accvgpr_read_b32 v[vgprValuC+189], acc83 // copy acc to vreg[77]
v_accvgpr_read_b32 v[vgprValuC+190], acc99 // copy acc to vreg[78]
v_accvgpr_read_b32 v[vgprValuC+191], acc115 // copy acc to vreg[79]
v_accvgpr_read_b32 v[vgprValuC+196], acc68 // copy acc to vreg[80]
v_accvgpr_read_b32 v[vgprValuC+197], acc84 // copy acc to vreg[81]
v_accvgpr_read_b32 v[vgprValuC+198], acc100 // copy acc to vreg[82]
v_accvgpr_read_b32 v[vgprValuC+199], acc116 // copy acc to vreg[83]
v_accvgpr_read_b32 v[vgprValuC+204], acc69 // copy acc to vreg[84]
v_accvgpr_read_b32 v[vgprValuC+205], acc85 // copy acc to vreg[85]
v_accvgpr_read_b32 v[vgprValuC+206], acc101 // copy acc to vreg[86]
v_accvgpr_read_b32 v[vgprValuC+207], acc117 // copy acc to vreg[87]
v_accvgpr_read_b32 v[vgprValuC+212], acc70 // copy acc to vreg[88]
v_accvgpr_read_b32 v[vgprValuC+213], acc86 // copy acc to vreg[89]
v_accvgpr_read_b32 v[vgprValuC+214], acc102 // copy acc to vreg[90]
v_accvgpr_read_b32 v[vgprValuC+215], acc118 // copy acc to vreg[91]
v_accvgpr_read_b32 v[vgprValuC+224], acc71 // copy acc to vreg[92]
v_accvgpr_read_b32 v[vgprValuC+225], acc87 // copy acc to vreg[93]
v_accvgpr_read_b32 v[vgprValuC+226], acc103 // copy acc to vreg[94]
v_accvgpr_read_b32 v[vgprValuC+227], acc119 // copy acc to vreg[95]
v_accvgpr_read_b32 v[vgprValuC+232], acc72 // copy acc to vreg[96]
v_accvgpr_read_b32 v[vgprValuC+233], acc88 // copy acc to vreg[97]
v_accvgpr_read_b32 v[vgprValuC+234], acc104 // copy acc to vreg[98]
v_accvgpr_read_b32 v[vgprValuC+235], acc120 // copy acc to vreg[99]
v_accvgpr_read_b32 v[vgprValuC+240], acc73 // copy acc to vreg[100]
v_accvgpr_read_b32 v[vgprValuC+241], acc89 // copy acc to vreg[101]
v_accvgpr_read_b32 v[vgprValuC+242], acc105 // copy acc to vreg[102]
v_accvgpr_read_b32 v[vgprValuC+243], acc121 // copy acc to vreg[103]
s_nop 1                                            // 2 wait states required before reading vgpr

/* rC *= alpha batchElements=[(0, 0, 0, 0), (0, 0, 0, 4), (0, 0, 0, 8), (0, 0, 0, 12), (0, 1, 0, 0), (0, 1, 0, 4), (0, 1, 0, 8), (0, 1, 0, 12), (0, 2, 0, 0), (0, 2, 0, 4), (0, 2, 0, 8), (0, 2, 0, 12), (0, 3, 0, 0), (0, 3, 0, 4), (0, 3, 0, 8), (0, 3, 0, 12), (0, 0, 1, 0), (0, 0, 1, 4), (0, 0, 1, 8), (0, 0, 1, 12), (0, 1, 1, 0), (0, 1, 1, 4), (0, 1, 1, 8), (0, 1, 1, 12), (0, 2, 1, 0), (0, 2, 1, 4)] */
v_mul_lo_u32 v[vgprValuC+12], s[sgprAlpha], v[vgprValuC+12] // *= alpha
v_mul_lo_u32 v[vgprValuC+13], s[sgprAlpha], v[vgprValuC+13] // *= alpha
v_mul_lo_u32 v[vgprValuC+14], s[sgprAlpha], v[vgprValuC+14] // *= alpha
v_mul_lo_u32 v[vgprValuC+15], s[sgprAlpha], v[vgprValuC+15] // *= alpha
v_mul_lo_u32 v[vgprValuC+20], s[sgprAlpha], v[vgprValuC+20] // *= alpha
v_mul_lo_u32 v[vgprValuC+21], s[sgprAlpha], v[vgprValuC+21] // *= alpha
v_mul_lo_u32 v[vgprValuC+22], s[sgprAlpha], v[vgprValuC+22] // *= alpha
v_mul_lo_u32 v[vgprValuC+23], s[sgprAlpha], v[vgprValuC+23] // *= alpha
v_mul_lo_u32 v[vgprValuC+32], s[sgprAlpha], v[vgprValuC+32] // *= alpha
v_mul_lo_u32 v[vgprValuC+33], s[sgprAlpha], v[vgprValuC+33] // *= alpha
v_mul_lo_u32 v[vgprValuC+34], s[sgprAlpha], v[vgprValuC+34] // *= alpha
v_mul_lo_u32 v[vgprValuC+35], s[sgprAlpha], v[vgprValuC+35] // *= alpha
v_mul_lo_u32 v[vgprValuC+48], s[sgprAlpha], v[vgprValuC+48] // *= alpha
v_mul_lo_u32 v[vgprValuC+49], s[sgprAlpha], v[vgprValuC+49] // *= alpha
v_mul_lo_u32 v[vgprValuC+50], s[sgprAlpha], v[vgprValuC+50] // *= alpha
v_mul_lo_u32 v[vgprValuC+51], s[sgprAlpha], v[vgprValuC+51] // *= alpha
v_mul_lo_u32 v[vgprValuC+56], s[sgprAlpha], v[vgprValuC+56] // *= alpha
v_mul_lo_u32 v[vgprValuC+57], s[sgprAlpha], v[vgprValuC+57] // *= alpha
v_mul_lo_u32 v[vgprValuC+58], s[sgprAlpha], v[vgprValuC+58] // *= alpha
v_mul_lo_u32 v[vgprValuC+59], s[sgprAlpha], v[vgprValuC+59] // *= alpha
v_mul_lo_u32 v[vgprValuC+64], s[sgprAlpha], v[vgprValuC+64] // *= alpha
v_mul_lo_u32 v[vgprValuC+65], s[sgprAlpha], v[vgprValuC+65] // *= alpha
v_mul_lo_u32 v[vgprValuC+66], s[sgprAlpha], v[vgprValuC+66] // *= alpha
v_mul_lo_u32 v[vgprValuC+67], s[sgprAlpha], v[vgprValuC+67] // *= alpha
v_mul_lo_u32 v[vgprValuC+72], s[sgprAlpha], v[vgprValuC+72] // *= alpha
v_mul_lo_u32 v[vgprValuC+73], s[sgprAlpha], v[vgprValuC+73] // *= alpha
v_mul_lo_u32 v[vgprValuC+74], s[sgprAlpha], v[vgprValuC+74] // *= alpha
v_mul_lo_u32 v[vgprValuC+75], s[sgprAlpha], v[vgprValuC+75] // *= alpha
v_mul_lo_u32 v[vgprValuC+80], s[sgprAlpha], v[vgprValuC+80] // *= alpha
v_mul_lo_u32 v[vgprValuC+81], s[sgprAlpha], v[vgprValuC+81] // *= alpha
v_mul_lo_u32 v[vgprValuC+82], s[sgprAlpha], v[vgprValuC+82] // *= alpha
v_mul_lo_u32 v[vgprValuC+83], s[sgprAlpha], v[vgprValuC+83] // *= alpha
v_mul_lo_u32 v[vgprValuC+88], s[sgprAlpha], v[vgprValuC+88] // *= alpha
v_mul_lo_u32 v[vgprValuC+89], s[sgprAlpha], v[vgprValuC+89] // *= alpha
v_mul_lo_u32 v[vgprValuC+90], s[sgprAlpha], v[vgprValuC+90] // *= alpha
v_mul_lo_u32 v[vgprValuC+91], s[sgprAlpha], v[vgprValuC+91] // *= alpha
v_mul_lo_u32 v[vgprValuC+96], s[sgprAlpha], v[vgprValuC+96] // *= alpha
v_mul_lo_u32 v[vgprValuC+97], s[sgprAlpha], v[vgprValuC+97] // *= alpha
v_mul_lo_u32 v[vgprValuC+98], s[sgprAlpha], v[vgprValuC+98] // *= alpha
v_mul_lo_u32 v[vgprValuC+99], s[sgprAlpha], v[vgprValuC+99] // *= alpha
v_mul_lo_u32 v[vgprValuC+104], s[sgprAlpha], v[vgprValuC+104] // *= alpha
v_mul_lo_u32 v[vgprValuC+105], s[sgprAlpha], v[vgprValuC+105] // *= alpha
v_mul_lo_u32 v[vgprValuC+106], s[sgprAlpha], v[vgprValuC+106] // *= alpha
v_mul_lo_u32 v[vgprValuC+107], s[sgprAlpha], v[vgprValuC+107] // *= alpha
v_mul_lo_u32 v[vgprValuC+116], s[sgprAlpha], v[vgprValuC+116] // *= alpha
v_mul_lo_u32 v[vgprValuC+117], s[sgprAlpha], v[vgprValuC+117] // *= alpha
v_mul_lo_u32 v[vgprValuC+118], s[sgprAlpha], v[vgprValuC+118] // *= alpha
v_mul_lo_u32 v[vgprValuC+119], s[sgprAlpha], v[vgprValuC+119] // *= alpha
v_mul_lo_u32 v[vgprValuC+124], s[sgprAlpha], v[vgprValuC+124] // *= alpha
v_mul_lo_u32 v[vgprValuC+125], s[sgprAlpha], v[vgprValuC+125] // *= alpha
v_mul_lo_u32 v[vgprValuC+126], s[sgprAlpha], v[vgprValuC+126] // *= alpha
v_mul_lo_u32 v[vgprValuC+127], s[sgprAlpha], v[vgprValuC+127] // *= alpha
v_mul_lo_u32 v[vgprValuC+132], s[sgprAlpha], v[vgprValuC+132] // *= alpha
v_mul_lo_u32 v[vgprValuC+133], s[sgprAlpha], v[vgprValuC+133] // *= alpha
v_mul_lo_u32 v[vgprValuC+134], s[sgprAlpha], v[vgprValuC+134] // *= alpha
v_mul_lo_u32 v[vgprValuC+135], s[sgprAlpha], v[vgprValuC+135] // *= alpha
v_mul_lo_u32 v[vgprValuC+140], s[sgprAlpha], v[vgprValuC+140] // *= alpha
v_mul_lo_u32 v[vgprValuC+141], s[sgprAlpha], v[vgprValuC+141] // *= alpha
v_mul_lo_u32 v[vgprValuC+142], s[sgprAlpha], v[vgprValuC+142] // *= alpha
v_mul_lo_u32 v[vgprValuC+143], s[sgprAlpha], v[vgprValuC+143] // *= alpha
v_mul_lo_u32 v[vgprValuC+152], s[sgprAlpha], v[vgprValuC+152] // *= alpha
v_mul_lo_u32 v[vgprValuC+153], s[sgprAlpha], v[vgprValuC+153] // *= alpha
v_mul_lo_u32 v[vgprValuC+154], s[sgprAlpha], v[vgprValuC+154] // *= alpha
v_mul_lo_u32 v[vgprValuC+155], s[sgprAlpha], v[vgprValuC+155] // *= alpha
v_mul_lo_u32 v[vgprValuC+160], s[sgprAlpha], v[vgprValuC+160] // *= alpha
v_mul_lo_u32 v[vgprValuC+161], s[sgprAlpha], v[vgprValuC+161] // *= alpha
v_mul_lo_u32 v[vgprValuC+162], s[sgprAlpha], v[vgprValuC+162] // *= alpha
v_mul_lo_u32 v[vgprValuC+163], s[sgprAlpha], v[vgprValuC+163] // *= alpha
v_mul_lo_u32 v[vgprValuC+168], s[sgprAlpha], v[vgprValuC+168] // *= alpha
v_mul_lo_u32 v[vgprValuC+169], s[sgprAlpha], v[vgprValuC+169] // *= alpha
v_mul_lo_u32 v[vgprValuC+170], s[sgprAlpha], v[vgprValuC+170] // *= alpha
v_mul_lo_u32 v[vgprValuC+171], s[sgprAlpha], v[vgprValuC+171] // *= alpha
v_mul_lo_u32 v[vgprValuC+176], s[sgprAlpha], v[vgprValuC+176] // *= alpha
v_mul_lo_u32 v[vgprValuC+177], s[sgprAlpha], v[vgprValuC+177] // *= alpha
v_mul_lo_u32 v[vgprValuC+178], s[sgprAlpha], v[vgprValuC+178] // *= alpha
v_mul_lo_u32 v[vgprValuC+179], s[sgprAlpha], v[vgprValuC+179] // *= alpha
v_mul_lo_u32 v[vgprValuC+188], s[sgprAlpha], v[vgprValuC+188] // *= alpha
v_mul_lo_u32 v[vgprValuC+189], s[sgprAlpha], v[vgprValuC+189] // *= alpha
v_mul_lo_u32 v[vgprValuC+190], s[sgprAlpha], v[vgprValuC+190] // *= alpha
v_mul_lo_u32 v[vgprValuC+191], s[sgprAlpha], v[vgprValuC+191] // *= alpha
v_mul_lo_u32 v[vgprValuC+196], s[sgprAlpha], v[vgprValuC+196] // *= alpha
v_mul_lo_u32 v[vgprValuC+197], s[sgprAlpha], v[vgprValuC+197] // *= alpha
v_mul_lo_u32 v[vgprValuC+198], s[sgprAlpha], v[vgprValuC+198] // *= alpha
v_mul_lo_u32 v[vgprValuC+199], s[sgprAlpha], v[vgprValuC+199] // *= alpha
v_mul_lo_u32 v[vgprValuC+204], s[sgprAlpha], v[vgprValuC+204] // *= alpha
v_mul_lo_u32 v[vgprValuC+205], s[sgprAlpha], v[vgprValuC+205] // *= alpha
v_mul_lo_u32 v[vgprValuC+206], s[sgprAlpha], v[vgprValuC+206] // *= alpha
v_mul_lo_u32 v[vgprValuC+207], s[sgprAlpha], v[vgprValuC+207] // *= alpha
v_mul_lo_u32 v[vgprValuC+212], s[sgprAlpha], v[vgprValuC+212] // *= alpha
v_mul_lo_u32 v[vgprValuC+213], s[sgprAlpha], v[vgprValuC+213] // *= alpha
v_mul_lo_u32 v[vgprValuC+214], s[sgprAlpha], v[vgprValuC+214] // *= alpha
v_mul_lo_u32 v[vgprValuC+215], s[sgprAlpha], v[vgprValuC+215] // *= alpha
v_mul_lo_u32 v[vgprValuC+224], s[sgprAlpha], v[vgprValuC+224] // *= alpha
v_mul_lo_u32 v[vgprValuC+225], s[sgprAlpha], v[vgprValuC+225] // *= alpha
v_mul_lo_u32 v[vgprValuC+226], s[sgprAlpha], v[vgprValuC+226] // *= alpha
v_mul_lo_u32 v[vgprValuC+227], s[sgprAlpha], v[vgprValuC+227] // *= alpha
v_mul_lo_u32 v[vgprValuC+232], s[sgprAlpha], v[vgprValuC+232] // *= alpha
v_mul_lo_u32 v[vgprValuC+233], s[sgprAlpha], v[vgprValuC+233] // *= alpha
v_mul_lo_u32 v[vgprValuC+234], s[sgprAlpha], v[vgprValuC+234] // *= alpha
v_mul_lo_u32 v[vgprValuC+235], s[sgprAlpha], v[vgprValuC+235] // *= alpha
v_mul_lo_u32 v[vgprValuC+240], s[sgprAlpha], v[vgprValuC+240] // *= alpha
v_mul_lo_u32 v[vgprValuC+241], s[sgprAlpha], v[vgprValuC+241] // *= alpha
v_mul_lo_u32 v[vgprValuC+242], s[sgprAlpha], v[vgprValuC+242] // *= alpha
v_mul_lo_u32 v[vgprValuC+243], s[sgprAlpha], v[vgprValuC+243] // *= alpha
s_waitcnt vmcnt(0)                                 // wait C

/* apply mask, calc new C and issue writes */
v_mul_lo_u32 v8, s[sgprBeta], v8                   // C = C*beta
_v_add_u32 v[vgprValuC+12], v8, v[vgprValuC+12]    // finalSum = sum*alpha + C*beta
v_mul_lo_u32 v9, s[sgprBeta], v9                   // C = C*beta
_v_add_u32 v[vgprValuC+13], v9, v[vgprValuC+13]    // finalSum = sum*alpha + C*beta
v_mul_lo_u32 v10, s[sgprBeta], v10                 // C = C*beta
_v_add_u32 v[vgprValuC+14], v10, v[vgprValuC+14]   // finalSum = sum*alpha + C*beta
v_mul_lo_u32 v11, s[sgprBeta], v11                 // C = C*beta
_v_add_u32 v[vgprValuC+15], v11, v[vgprValuC+15]   // finalSum = sum*alpha + C*beta
_buffer_store_b128 v[12:15], v6, s[sgprSrdD:sgprSrdD+3], 0, offen, offset:0 // store D
v_mul_lo_u32 v16, s[sgprBeta], v16                 // C = C*beta
_v_add_u32 v[vgprValuC+20], v16, v[vgprValuC+20]   // finalSum = sum*alpha + C*beta
v_mul_lo_u32 v17, s[sgprBeta], v17                 // C = C*beta
_v_add_u32 v[vgprValuC+21], v17, v[vgprValuC+21]   // finalSum = sum*alpha + C*beta
v_mul_lo_u32 v18, s[sgprBeta], v18                 // C = C*beta
_v_add_u32 v[vgprValuC+22], v18, v[vgprValuC+22]   // finalSum = sum*alpha + C*beta
v_mul_lo_u32 v19, s[sgprBeta], v19                 // C = C*beta
_v_add_u32 v[vgprValuC+23], v19, v[vgprValuC+23]   // finalSum = sum*alpha + C*beta
_buffer_store_b128 v[20:23], v7, s[sgprSrdD:sgprSrdD+3], 0, offen, offset:0 // store D
v_mul_lo_u32 v28, s[sgprBeta], v28                 // C = C*beta
_v_add_u32 v[vgprValuC+32], v28, v[vgprValuC+32]   // finalSum = sum*alpha + C*beta
v_mul_lo_u32 v29, s[sgprBeta], v29                 // C = C*beta
_v_add_u32 v[vgprValuC+33], v29, v[vgprValuC+33]   // finalSum = sum*alpha + C*beta
	;; [unrolled: 9-line block ×9, first 2 shown]
v_mul_lo_u32 v94, s[sgprBeta], v94                 // C = C*beta
_v_add_u32 v[vgprValuC+98], v94, v[vgprValuC+98]   // finalSum = sum*alpha + C*beta
v_mul_lo_u32 v95, s[sgprBeta], v95                 // C = C*beta
_v_add_u32 v[vgprValuC+99], v95, v[vgprValuC+99]   // finalSum = sum*alpha + C*beta
_buffer_store_b128 v[96:99], v42, s[sgprSrdD:sgprSrdD+3], 0, offen, offset:0 // store D
v_mul_lo_u32 v100, s[sgprBeta], v100               // C = C*beta
_v_add_u32 v[vgprValuC+104], v100, v[vgprValuC+104] // finalSum = sum*alpha + C*beta
v_mul_lo_u32 v101, s[sgprBeta], v101               // C = C*beta
_v_add_u32 v[vgprValuC+105], v101, v[vgprValuC+105] // finalSum = sum*alpha + C*beta
v_mul_lo_u32 v102, s[sgprBeta], v102               // C = C*beta
_v_add_u32 v[vgprValuC+106], v102, v[vgprValuC+106] // finalSum = sum*alpha + C*beta
v_mul_lo_u32 v103, s[sgprBeta], v103               // C = C*beta
_v_add_u32 v[vgprValuC+107], v103, v[vgprValuC+107] // finalSum = sum*alpha + C*beta
_buffer_store_b128 v[104:107], v43, s[sgprSrdD:sgprSrdD+3], 0, offen, offset:0 // store D
v_mul_lo_u32 v112, s[sgprBeta], v112               // C = C*beta
_v_add_u32 v[vgprValuC+116], v112, v[vgprValuC+116] // finalSum = sum*alpha + C*beta
v_mul_lo_u32 v113, s[sgprBeta], v113               // C = C*beta
_v_add_u32 v[vgprValuC+117], v113, v[vgprValuC+117] // finalSum = sum*alpha + C*beta
v_mul_lo_u32 v114, s[sgprBeta], v114               // C = C*beta
_v_add_u32 v[vgprValuC+118], v114, v[vgprValuC+118] // finalSum = sum*alpha + C*beta
v_mul_lo_u32 v115, s[sgprBeta], v115               // C = C*beta
_v_add_u32 v[vgprValuC+119], v115, v[vgprValuC+119] // finalSum = sum*alpha + C*beta
	;; [unrolled: 9-line block ×16, first 2 shown]
_buffer_store_b128 v[240:243], v218, s[sgprSrdD:sgprSrdD+3], 0, offen, offset:0 // store D
s_nop 0                                            // 1 wait state required when next inst writes vgprs held by previous dwordx4 store inst
/* optSingleColVgpr=0 optSharedColVgpr=0 optSGPRUsage=BufferLoad_Edge_Mask optSrdIncForRow=0 */

/******************************************/
/* Global Write Alpha Beta Edge Batch #1 (d1,d0,vc1,vc0) = */
/*    (0,2,1,8:vw4); (0,2,1,12:vw4); (0,3,1,0:vw4); (0,3,1,4:vw4); (0,3,1,8:vw4); (0,3,1,12:vw4); (0,0,2,0:vw4); (0,0,2,4:vw4); (0,0,2,8:vw4); (0,0,2,12:vw4); (0,1,2,0:vw4); (0,1,2,4:vw4); (0,1,2,8:vw4); (0,1,2,12:vw4); (0,2,2,0:vw4); (0,2,2,4:vw4); (0,2,2,8:vw4); (0,2,2,12:vw4); (0,3,2,0:vw4); (0,3,2,4:vw4); (0,3,2,8:vw4); (0,3,2,12:vw4); (0,0,3,0:vw4); (0,0,3,4:vw4); (0,0,3,8:vw4); (0,0,3,12:vw4) */
/******************************************/

/* calc coords, apply mask, and issue loads (if necessary) */
/* (d1,vc1,d0,vc0)=(0,1,2,8) */
s_mov_b32 s64, 72                                  // coordOffset0 d0=2 vc0=8
_v_add_co_u32 v4, vcc, v0, s64                     // coord0.2: coord0 += d0*sg0*VW + vc0
v_cmp_lt_u32 s[64:65], v4, s[sgprSizeI]            // coord0 < size0
v_cmp_lt_u32 s[68:69], v1, s[sgprSizeJ]            // coord1 < size1
s_and_b64 s[68:69], s[64:65], s[68:69]             // in0 && in1
_v_add_lshl_u32 v6, v2, v4, 0x2                    // scaleToBpe: accumulate d0 lower and *= bpe into Cin addr
v_cndmask_b32 v6, -1, v6, s[68:69]                 // LDC clip if OOB. offset
_buffer_load_b128 v[8:11], v6, s[sgprSrdC:sgprSrdC+3], 0, offen offset:0 // load C for beta calc
_v_add_lshl_u32 v6, v3, v4, 0x2                    // scaleToBpe: accumulate d0 lower and *= bpe into Cin addr
v_cndmask_b32 v6, -1, v6, s[68:69]                 // LDD clip if OOB. offset
/* (d1,vc1,d0,vc0)=(0,1,2,12) */
s_mov_b32 s64, 76                                  // coordOffset0 d0=2 vc0=12
_v_add_co_u32 v4, vcc, v0, s64                     // coord0.2: coord0 += d0*sg0*VW + vc0
v_cmp_lt_u32 s[64:65], v4, s[sgprSizeI]            // coord0 < size0
v_cmp_lt_u32 s[68:69], v1, s[sgprSizeJ]            // coord1 < size1
s_and_b64 s[68:69], s[64:65], s[68:69]             // in0 && in1
_v_add_lshl_u32 v7, v2, v4, 0x2                    // scaleToBpe: accumulate d0 lower and *= bpe into Cin addr
v_cndmask_b32 v7, -1, v7, s[68:69]                 // LDC clip if OOB. offset
_buffer_load_b128 v[16:19], v7, s[sgprSrdC:sgprSrdC+3], 0, offen offset:0 // load C for beta calc
_v_add_lshl_u32 v7, v3, v4, 0x2                    // scaleToBpe: accumulate d0 lower and *= bpe into Cin addr
v_cndmask_b32 v7, -1, v7, s[68:69]                 // LDD clip if OOB. offset
/* (d1,vc1,d0,vc0)=(0,1,3,0) */
s_mov_b32 s64, 96                                  // coordOffset0 d0=3 vc0=0
_v_add_co_u32 v4, vcc, v0, s64                     // coord0.2: coord0 += d0*sg0*VW + vc0
v_cmp_lt_u32 s[64:65], v4, s[sgprSizeI]            // coord0 < size0
v_cmp_lt_u32 s[68:69], v1, s[sgprSizeJ]            // coord1 < size1
s_and_b64 s[68:69], s[64:65], s[68:69]             // in0 && in1
_v_add_lshl_u32 v24, v2, v4, 0x2                   // scaleToBpe: accumulate d0 lower and *= bpe into Cin addr
v_cndmask_b32 v24, -1, v24, s[68:69]               // LDC clip if OOB. offset
_buffer_load_b128 v[28:31], v24, s[sgprSrdC:sgprSrdC+3], 0, offen offset:0 // load C for beta calc
_v_add_lshl_u32 v24, v3, v4, 0x2                   // scaleToBpe: accumulate d0 lower and *= bpe into Cin addr
v_cndmask_b32 v24, -1, v24, s[68:69]               // LDD clip if OOB. offset
/* (d1,vc1,d0,vc0)=(0,1,3,4) */
s_mov_b32 s64, 100                                 // coordOffset0 d0=3 vc0=4
_v_add_co_u32 v4, vcc, v0, s64                     // coord0.2: coord0 += d0*sg0*VW + vc0
v_cmp_lt_u32 s[64:65], v4, s[sgprSizeI]            // coord0 < size0
v_cmp_lt_u32 s[68:69], v1, s[sgprSizeJ]            // coord1 < size1
s_and_b64 s[68:69], s[64:65], s[68:69]             // in0 && in1
_v_add_lshl_u32 v25, v2, v4, 0x2                   // scaleToBpe: accumulate d0 lower and *= bpe into Cin addr
v_cndmask_b32 v25, -1, v25, s[68:69]               // LDC clip if OOB. offset
_buffer_load_b128 v[44:47], v25, s[sgprSrdC:sgprSrdC+3], 0, offen offset:0 // load C for beta calc
_v_add_lshl_u32 v25, v3, v4, 0x2                   // scaleToBpe: accumulate d0 lower and *= bpe into Cin addr
v_cndmask_b32 v25, -1, v25, s[68:69]               // LDD clip if OOB. offset
/* (d1,vc1,d0,vc0)=(0,1,3,8) */
s_mov_b32 s64, 104                                 // coordOffset0 d0=3 vc0=8
	;; [unrolled: 11-line block ×3, first 2 shown]
_v_add_co_u32 v4, vcc, v0, s64                     // coord0.2: coord0 += d0*sg0*VW + vc0
v_cmp_lt_u32 s[64:65], v4, s[sgprSizeI]            // coord0 < size0
v_cmp_lt_u32 s[68:69], v1, s[sgprSizeJ]            // coord1 < size1
s_and_b64 s[68:69], s[64:65], s[68:69]             // in0 && in1
_v_add_lshl_u32 v27, v2, v4, 0x2                   // scaleToBpe: accumulate d0 lower and *= bpe into Cin addr
v_cndmask_b32 v27, -1, v27, s[68:69]               // LDC clip if OOB. offset
_buffer_load_b128 v[60:63], v27, s[sgprSrdC:sgprSrdC+3], 0, offen offset:0 // load C for beta calc
_v_add_lshl_u32 v27, v3, v4, 0x2                   // scaleToBpe: accumulate d0 lower and *= bpe into Cin addr
v_cndmask_b32 v27, -1, v27, s[68:69]               // LDD clip if OOB. offset
/* (d1,vc1,d0,vc0)=(0,2,0,0) */
_v_add_co_u32 v1, vcc, v1, 1                       // coord1.1: coord1Vgpr += d1*sg1*VW + vc1

/* Fix for UseInitialStridesCD, emitAddressSetupCode */
_v_add_u32 v2, v2, s[sgprStrideC1J]                // ROWINC- Move cinRowPtr to next row
_v_add_u32 v3, v3, s[sgprStrideD1J]                // Move coutRowPtr to next row
v_cmp_lt_u32 s[64:65], v0, s[sgprSizeI]            // coord0 < size0
v_cmp_lt_u32 s[68:69], v1, s[sgprSizeJ]            // coord1 < size1
s_and_b64 s[68:69], s[64:65], s[68:69]             // in0 && in1
_v_add_lshl_u32 v36, v2, v0, 0x2                   // scaleToBpe: accumulate d0 lower and *= bpe into Cin addr
v_cndmask_b32 v36, -1, v36, s[68:69]               // LDC clip if OOB. offset
_buffer_load_b128 v[68:71], v36, s[sgprSrdC:sgprSrdC+3], 0, offen offset:0 // load C for beta calc
_v_add_lshl_u32 v36, v3, v0, 0x2                   // scaleToBpe: accumulate d0 lower and *= bpe into Cin addr
v_cndmask_b32 v36, -1, v36, s[68:69]               // LDD clip if OOB. offset
/* (d1,vc1,d0,vc0)=(0,2,0,4) */
_v_add_co_u32 v4, vcc, v0, 4                       // coord0.1: coord0 += d0*sg0*VW + vc0
v_cmp_lt_u32 s[64:65], v4, s[sgprSizeI]            // coord0 < size0
v_cmp_lt_u32 s[68:69], v1, s[sgprSizeJ]            // coord1 < size1
s_and_b64 s[68:69], s[64:65], s[68:69]             // in0 && in1
_v_add_lshl_u32 v37, v2, v4, 0x2                   // scaleToBpe: accumulate d0 lower and *= bpe into Cin addr
v_cndmask_b32 v37, -1, v37, s[68:69]               // LDC clip if OOB. offset
_buffer_load_b128 v[76:79], v37, s[sgprSrdC:sgprSrdC+3], 0, offen offset:0 // load C for beta calc
_v_add_lshl_u32 v37, v3, v4, 0x2                   // scaleToBpe: accumulate d0 lower and *= bpe into Cin addr
v_cndmask_b32 v37, -1, v37, s[68:69]               // LDD clip if OOB. offset
/* (d1,vc1,d0,vc0)=(0,2,0,8) */
_v_add_co_u32 v4, vcc, v0, 8                       // coord0.1: coord0 += d0*sg0*VW + vc0
v_cmp_lt_u32 s[64:65], v4, s[sgprSizeI]            // coord0 < size0
v_cmp_lt_u32 s[68:69], v1, s[sgprSizeJ]            // coord1 < size1
s_and_b64 s[68:69], s[64:65], s[68:69]             // in0 && in1
_v_add_lshl_u32 v41, v2, v4, 0x2                   // scaleToBpe: accumulate d0 lower and *= bpe into Cin addr
v_cndmask_b32 v41, -1, v41, s[68:69]               // LDC clip if OOB. offset
_buffer_load_b128 v[84:87], v41, s[sgprSrdC:sgprSrdC+3], 0, offen offset:0 // load C for beta calc
_v_add_lshl_u32 v41, v3, v4, 0x2                   // scaleToBpe: accumulate d0 lower and *= bpe into Cin addr
v_cndmask_b32 v41, -1, v41, s[68:69]               // LDD clip if OOB. offset
/* (d1,vc1,d0,vc0)=(0,2,0,12) */
_v_add_co_u32 v4, vcc, v0, 12                      // coord0.1: coord0 += d0*sg0*VW + vc0
v_cmp_lt_u32 s[64:65], v4, s[sgprSizeI]            // coord0 < size0
v_cmp_lt_u32 s[68:69], v1, s[sgprSizeJ]            // coord1 < size1
s_and_b64 s[68:69], s[64:65], s[68:69]             // in0 && in1
_v_add_lshl_u32 v42, v2, v4, 0x2                   // scaleToBpe: accumulate d0 lower and *= bpe into Cin addr
v_cndmask_b32 v42, -1, v42, s[68:69]               // LDC clip if OOB. offset
_buffer_load_b128 v[92:95], v42, s[sgprSrdC:sgprSrdC+3], 0, offen offset:0 // load C for beta calc
_v_add_lshl_u32 v42, v3, v4, 0x2                   // scaleToBpe: accumulate d0 lower and *= bpe into Cin addr
v_cndmask_b32 v42, -1, v42, s[68:69]               // LDD clip if OOB. offset
/* (d1,vc1,d0,vc0)=(0,2,1,0) */
_v_add_co_u32 v4, vcc, v0, 32                      // coord0.1: coord0 += d0*sg0*VW + vc0
	;; [unrolled: 10-line block ×3, first 2 shown]
v_cmp_lt_u32 s[64:65], v4, s[sgprSizeI]            // coord0 < size0
v_cmp_lt_u32 s[68:69], v1, s[sgprSizeJ]            // coord1 < size1
s_and_b64 s[68:69], s[64:65], s[68:69]             // in0 && in1
_v_add_lshl_u32 v108, v2, v4, 0x2                  // scaleToBpe: accumulate d0 lower and *= bpe into Cin addr
v_cndmask_b32 v108, -1, v108, s[68:69]             // LDC clip if OOB. offset
_buffer_load_b128 v[112:115], v108, s[sgprSrdC:sgprSrdC+3], 0, offen offset:0 // load C for beta calc
_v_add_lshl_u32 v108, v3, v4, 0x2                  // scaleToBpe: accumulate d0 lower and *= bpe into Cin addr
v_cndmask_b32 v108, -1, v108, s[68:69]             // LDD clip if OOB. offset
/* (d1,vc1,d0,vc0)=(0,2,1,8) */
_v_add_co_u32 v4, vcc, v0, 40                      // coord0.1: coord0 += d0*sg0*VW + vc0
v_cmp_lt_u32 s[64:65], v4, s[sgprSizeI]            // coord0 < size0
v_cmp_lt_u32 s[68:69], v1, s[sgprSizeJ]            // coord1 < size1
s_and_b64 s[68:69], s[64:65], s[68:69]             // in0 && in1
_v_add_lshl_u32 v109, v2, v4, 0x2                  // scaleToBpe: accumulate d0 lower and *= bpe into Cin addr
v_cndmask_b32 v109, -1, v109, s[68:69]             // LDC clip if OOB. offset
_buffer_load_b128 v[120:123], v109, s[sgprSrdC:sgprSrdC+3], 0, offen offset:0 // load C for beta calc
_v_add_lshl_u32 v109, v3, v4, 0x2                  // scaleToBpe: accumulate d0 lower and *= bpe into Cin addr
v_cndmask_b32 v109, -1, v109, s[68:69]             // LDD clip if OOB. offset
/* (d1,vc1,d0,vc0)=(0,2,1,12) */
_v_add_co_u32 v4, vcc, v0, 44                      // coord0.1: coord0 += d0*sg0*VW + vc0
	;; [unrolled: 10-line block ×3, first 2 shown]
v_cmp_lt_u32 s[64:65], v4, s[sgprSizeI]            // coord0 < size0
v_cmp_lt_u32 s[68:69], v1, s[sgprSizeJ]            // coord1 < size1
s_and_b64 s[68:69], s[64:65], s[68:69]             // in0 && in1
_v_add_lshl_u32 v111, v2, v4, 0x2                  // scaleToBpe: accumulate d0 lower and *= bpe into Cin addr
v_cndmask_b32 v111, -1, v111, s[68:69]             // LDC clip if OOB. offset
_buffer_load_b128 v[136:139], v111, s[sgprSrdC:sgprSrdC+3], 0, offen offset:0 // load C for beta calc
_v_add_lshl_u32 v111, v3, v4, 0x2                  // scaleToBpe: accumulate d0 lower and *= bpe into Cin addr
v_cndmask_b32 v111, -1, v111, s[68:69]             // LDD clip if OOB. offset
/* (d1,vc1,d0,vc0)=(0,2,2,4) */
s_mov_b32 s64, 68                                  // coordOffset0 d0=2 vc0=4
_v_add_co_u32 v4, vcc, v0, s64                     // coord0.2: coord0 += d0*sg0*VW + vc0
v_cmp_lt_u32 s[64:65], v4, s[sgprSizeI]            // coord0 < size0
v_cmp_lt_u32 s[68:69], v1, s[sgprSizeJ]            // coord1 < size1
s_and_b64 s[68:69], s[64:65], s[68:69]             // in0 && in1
_v_add_lshl_u32 v144, v2, v4, 0x2                  // scaleToBpe: accumulate d0 lower and *= bpe into Cin addr
v_cndmask_b32 v144, -1, v144, s[68:69]             // LDC clip if OOB. offset
_buffer_load_b128 v[148:151], v144, s[sgprSrdC:sgprSrdC+3], 0, offen offset:0 // load C for beta calc
_v_add_lshl_u32 v144, v3, v4, 0x2                  // scaleToBpe: accumulate d0 lower and *= bpe into Cin addr
v_cndmask_b32 v144, -1, v144, s[68:69]             // LDD clip if OOB. offset
/* (d1,vc1,d0,vc0)=(0,2,2,8) */
s_mov_b32 s64, 72                                  // coordOffset0 d0=2 vc0=8
_v_add_co_u32 v4, vcc, v0, s64                     // coord0.2: coord0 += d0*sg0*VW + vc0
	;; [unrolled: 11-line block ×4, first 2 shown]
v_cmp_lt_u32 s[64:65], v4, s[sgprSizeI]            // coord0 < size0
v_cmp_lt_u32 s[68:69], v1, s[sgprSizeJ]            // coord1 < size1
s_and_b64 s[68:69], s[64:65], s[68:69]             // in0 && in1
_v_add_lshl_u32 v147, v2, v4, 0x2                  // scaleToBpe: accumulate d0 lower and *= bpe into Cin addr
v_cndmask_b32 v147, -1, v147, s[68:69]             // LDC clip if OOB. offset
_buffer_load_b128 v[172:175], v147, s[sgprSrdC:sgprSrdC+3], 0, offen offset:0 // load C for beta calc
_v_add_lshl_u32 v147, v3, v4, 0x2                  // scaleToBpe: accumulate d0 lower and *= bpe into Cin addr
v_cndmask_b32 v147, -1, v147, s[68:69]             // LDD clip if OOB. offset
/* (d1,vc1,d0,vc0)=(0,2,3,4) */
s_mov_b32 s64, 100                                 // coordOffset0 d0=3 vc0=4
_v_add_co_u32 v4, vcc, v0, s64                     // coord0.2: coord0 += d0*sg0*VW + vc0
v_cmp_lt_u32 s[64:65], v4, s[sgprSizeI]            // coord0 < size0
v_cmp_lt_u32 s[68:69], v1, s[sgprSizeJ]            // coord1 < size1
s_and_b64 s[68:69], s[64:65], s[68:69]             // in0 && in1
_v_add_lshl_u32 v180, v2, v4, 0x2                  // scaleToBpe: accumulate d0 lower and *= bpe into Cin addr
v_cndmask_b32 v180, -1, v180, s[68:69]             // LDC clip if OOB. offset
_buffer_load_b128 v[184:187], v180, s[sgprSrdC:sgprSrdC+3], 0, offen offset:0 // load C for beta calc
_v_add_lshl_u32 v180, v3, v4, 0x2                  // scaleToBpe: accumulate d0 lower and *= bpe into Cin addr
v_cndmask_b32 v180, -1, v180, s[68:69]             // LDD clip if OOB. offset
/* (d1,vc1,d0,vc0)=(0,2,3,8) */
s_mov_b32 s64, 104                                 // coordOffset0 d0=3 vc0=8
_v_add_co_u32 v4, vcc, v0, s64                     // coord0.2: coord0 += d0*sg0*VW + vc0
	;; [unrolled: 11-line block ×3, first 2 shown]
v_cmp_lt_u32 s[64:65], v4, s[sgprSizeI]            // coord0 < size0
v_cmp_lt_u32 s[68:69], v1, s[sgprSizeJ]            // coord1 < size1
s_and_b64 s[68:69], s[64:65], s[68:69]             // in0 && in1
_v_add_lshl_u32 v182, v2, v4, 0x2                  // scaleToBpe: accumulate d0 lower and *= bpe into Cin addr
v_cndmask_b32 v182, -1, v182, s[68:69]             // LDC clip if OOB. offset
_buffer_load_b128 v[200:203], v182, s[sgprSrdC:sgprSrdC+3], 0, offen offset:0 // load C for beta calc
_v_add_lshl_u32 v182, v3, v4, 0x2                  // scaleToBpe: accumulate d0 lower and *= bpe into Cin addr
v_cndmask_b32 v182, -1, v182, s[68:69]             // LDD clip if OOB. offset
/* (d1,vc1,d0,vc0)=(0,3,0,0) */
_v_add_co_u32 v1, vcc, v1, 1                       // coord1.1: coord1Vgpr += d1*sg1*VW + vc1

/* Fix for UseInitialStridesCD, emitAddressSetupCode */
_v_add_u32 v2, v2, s[sgprStrideC1J]                // ROWINC- Move cinRowPtr to next row
_v_add_u32 v3, v3, s[sgprStrideD1J]                // Move coutRowPtr to next row
v_cmp_lt_u32 s[64:65], v0, s[sgprSizeI]            // coord0 < size0
v_cmp_lt_u32 s[68:69], v1, s[sgprSizeJ]            // coord1 < size1
s_and_b64 s[68:69], s[64:65], s[68:69]             // in0 && in1
_v_add_lshl_u32 v183, v2, v0, 0x2                  // scaleToBpe: accumulate d0 lower and *= bpe into Cin addr
v_cndmask_b32 v183, -1, v183, s[68:69]             // LDC clip if OOB. offset
_buffer_load_b128 v[208:211], v183, s[sgprSrdC:sgprSrdC+3], 0, offen offset:0 // load C for beta calc
_v_add_lshl_u32 v183, v3, v0, 0x2                  // scaleToBpe: accumulate d0 lower and *= bpe into Cin addr
v_cndmask_b32 v183, -1, v183, s[68:69]             // LDD clip if OOB. offset
/* (d1,vc1,d0,vc0)=(0,3,0,4) */
_v_add_co_u32 v4, vcc, v0, 4                       // coord0.1: coord0 += d0*sg0*VW + vc0
v_cmp_lt_u32 s[64:65], v4, s[sgprSizeI]            // coord0 < size0
v_cmp_lt_u32 s[68:69], v1, s[sgprSizeJ]            // coord1 < size1
s_and_b64 s[68:69], s[64:65], s[68:69]             // in0 && in1
_v_add_lshl_u32 v216, v2, v4, 0x2                  // scaleToBpe: accumulate d0 lower and *= bpe into Cin addr
v_cndmask_b32 v216, -1, v216, s[68:69]             // LDC clip if OOB. offset
_buffer_load_b128 v[220:223], v216, s[sgprSrdC:sgprSrdC+3], 0, offen offset:0 // load C for beta calc
_v_add_lshl_u32 v216, v3, v4, 0x2                  // scaleToBpe: accumulate d0 lower and *= bpe into Cin addr
v_cndmask_b32 v216, -1, v216, s[68:69]             // LDD clip if OOB. offset
/* (d1,vc1,d0,vc0)=(0,3,0,8) */
_v_add_co_u32 v4, vcc, v0, 8                       // coord0.1: coord0 += d0*sg0*VW + vc0
v_cmp_lt_u32 s[64:65], v4, s[sgprSizeI]            // coord0 < size0
v_cmp_lt_u32 s[68:69], v1, s[sgprSizeJ]            // coord1 < size1
s_and_b64 s[68:69], s[64:65], s[68:69]             // in0 && in1
_v_add_lshl_u32 v217, v2, v4, 0x2                  // scaleToBpe: accumulate d0 lower and *= bpe into Cin addr
v_cndmask_b32 v217, -1, v217, s[68:69]             // LDC clip if OOB. offset
_buffer_load_b128 v[228:231], v217, s[sgprSrdC:sgprSrdC+3], 0, offen offset:0 // load C for beta calc
_v_add_lshl_u32 v217, v3, v4, 0x2                  // scaleToBpe: accumulate d0 lower and *= bpe into Cin addr
v_cndmask_b32 v217, -1, v217, s[68:69]             // LDD clip if OOB. offset
/* (d1,vc1,d0,vc0)=(0,3,0,12) */
_v_add_co_u32 v4, vcc, v0, 12                      // coord0.1: coord0 += d0*sg0*VW + vc0
v_cmp_lt_u32 s[64:65], v4, s[sgprSizeI]            // coord0 < size0
v_cmp_lt_u32 s[68:69], v1, s[sgprSizeJ]            // coord1 < size1
s_and_b64 s[68:69], s[64:65], s[68:69]             // in0 && in1
_v_add_lshl_u32 v218, v2, v4, 0x2                  // scaleToBpe: accumulate d0 lower and *= bpe into Cin addr
v_cndmask_b32 v218, -1, v218, s[68:69]             // LDC clip if OOB. offset
_buffer_load_b128 v[236:239], v218, s[sgprSrdC:sgprSrdC+3], 0, offen offset:0 // load C for beta calc
_v_add_lshl_u32 v218, v3, v4, 0x2                  // scaleToBpe: accumulate d0 lower and *= bpe into Cin addr
v_cndmask_b32 v218, -1, v218, s[68:69]             // LDD clip if OOB. offset
v_accvgpr_read_b32 v[vgprValuC+12], acc74 // copy acc to vreg[104]
v_accvgpr_read_b32 v[vgprValuC+13], acc90 // copy acc to vreg[105]
v_accvgpr_read_b32 v[vgprValuC+14], acc106 // copy acc to vreg[106]
v_accvgpr_read_b32 v[vgprValuC+15], acc122 // copy acc to vreg[107]
v_accvgpr_read_b32 v[vgprValuC+20], acc75 // copy acc to vreg[108]
v_accvgpr_read_b32 v[vgprValuC+21], acc91 // copy acc to vreg[109]
v_accvgpr_read_b32 v[vgprValuC+22], acc107 // copy acc to vreg[110]
v_accvgpr_read_b32 v[vgprValuC+23], acc123 // copy acc to vreg[111]
v_accvgpr_read_b32 v[vgprValuC+32], acc76 // copy acc to vreg[112]
v_accvgpr_read_b32 v[vgprValuC+33], acc92 // copy acc to vreg[113]
v_accvgpr_read_b32 v[vgprValuC+34], acc108 // copy acc to vreg[114]
v_accvgpr_read_b32 v[vgprValuC+35], acc124 // copy acc to vreg[115]
v_accvgpr_read_b32 v[vgprValuC+48], acc77 // copy acc to vreg[116]
v_accvgpr_read_b32 v[vgprValuC+49], acc93 // copy acc to vreg[117]
v_accvgpr_read_b32 v[vgprValuC+50], acc109 // copy acc to vreg[118]
v_accvgpr_read_b32 v[vgprValuC+51], acc125 // copy acc to vreg[119]
v_accvgpr_read_b32 v[vgprValuC+56], acc78 // copy acc to vreg[120]
v_accvgpr_read_b32 v[vgprValuC+57], acc94 // copy acc to vreg[121]
v_accvgpr_read_b32 v[vgprValuC+58], acc110 // copy acc to vreg[122]
v_accvgpr_read_b32 v[vgprValuC+59], acc126 // copy acc to vreg[123]
v_accvgpr_read_b32 v[vgprValuC+64], acc79 // copy acc to vreg[124]
v_accvgpr_read_b32 v[vgprValuC+65], acc95 // copy acc to vreg[125]
v_accvgpr_read_b32 v[vgprValuC+66], acc111 // copy acc to vreg[126]
v_accvgpr_read_b32 v[vgprValuC+67], acc127 // copy acc to vreg[127]
v_accvgpr_read_b32 v[vgprValuC+72], acc128 // copy acc to vreg[128]
v_accvgpr_read_b32 v[vgprValuC+73], acc144 // copy acc to vreg[129]
v_accvgpr_read_b32 v[vgprValuC+74], acc160 // copy acc to vreg[130]
v_accvgpr_read_b32 v[vgprValuC+75], acc176 // copy acc to vreg[131]
v_accvgpr_read_b32 v[vgprValuC+80], acc129 // copy acc to vreg[132]
v_accvgpr_read_b32 v[vgprValuC+81], acc145 // copy acc to vreg[133]
v_accvgpr_read_b32 v[vgprValuC+82], acc161 // copy acc to vreg[134]
v_accvgpr_read_b32 v[vgprValuC+83], acc177 // copy acc to vreg[135]
v_accvgpr_read_b32 v[vgprValuC+88], acc130 // copy acc to vreg[136]
v_accvgpr_read_b32 v[vgprValuC+89], acc146 // copy acc to vreg[137]
v_accvgpr_read_b32 v[vgprValuC+90], acc162 // copy acc to vreg[138]
v_accvgpr_read_b32 v[vgprValuC+91], acc178 // copy acc to vreg[139]
v_accvgpr_read_b32 v[vgprValuC+96], acc131 // copy acc to vreg[140]
v_accvgpr_read_b32 v[vgprValuC+97], acc147 // copy acc to vreg[141]
v_accvgpr_read_b32 v[vgprValuC+98], acc163 // copy acc to vreg[142]
v_accvgpr_read_b32 v[vgprValuC+99], acc179 // copy acc to vreg[143]
v_accvgpr_read_b32 v[vgprValuC+104], acc132 // copy acc to vreg[144]
v_accvgpr_read_b32 v[vgprValuC+105], acc148 // copy acc to vreg[145]
v_accvgpr_read_b32 v[vgprValuC+106], acc164 // copy acc to vreg[146]
v_accvgpr_read_b32 v[vgprValuC+107], acc180 // copy acc to vreg[147]
v_accvgpr_read_b32 v[vgprValuC+116], acc133 // copy acc to vreg[148]
v_accvgpr_read_b32 v[vgprValuC+117], acc149 // copy acc to vreg[149]
v_accvgpr_read_b32 v[vgprValuC+118], acc165 // copy acc to vreg[150]
v_accvgpr_read_b32 v[vgprValuC+119], acc181 // copy acc to vreg[151]
v_accvgpr_read_b32 v[vgprValuC+124], acc134 // copy acc to vreg[152]
v_accvgpr_read_b32 v[vgprValuC+125], acc150 // copy acc to vreg[153]
v_accvgpr_read_b32 v[vgprValuC+126], acc166 // copy acc to vreg[154]
v_accvgpr_read_b32 v[vgprValuC+127], acc182 // copy acc to vreg[155]
v_accvgpr_read_b32 v[vgprValuC+132], acc135 // copy acc to vreg[156]
v_accvgpr_read_b32 v[vgprValuC+133], acc151 // copy acc to vreg[157]
v_accvgpr_read_b32 v[vgprValuC+134], acc167 // copy acc to vreg[158]
v_accvgpr_read_b32 v[vgprValuC+135], acc183 // copy acc to vreg[159]
v_accvgpr_read_b32 v[vgprValuC+140], acc136 // copy acc to vreg[160]
v_accvgpr_read_b32 v[vgprValuC+141], acc152 // copy acc to vreg[161]
v_accvgpr_read_b32 v[vgprValuC+142], acc168 // copy acc to vreg[162]
v_accvgpr_read_b32 v[vgprValuC+143], acc184 // copy acc to vreg[163]
v_accvgpr_read_b32 v[vgprValuC+152], acc137 // copy acc to vreg[164]
v_accvgpr_read_b32 v[vgprValuC+153], acc153 // copy acc to vreg[165]
v_accvgpr_read_b32 v[vgprValuC+154], acc169 // copy acc to vreg[166]
v_accvgpr_read_b32 v[vgprValuC+155], acc185 // copy acc to vreg[167]
v_accvgpr_read_b32 v[vgprValuC+160], acc138 // copy acc to vreg[168]
v_accvgpr_read_b32 v[vgprValuC+161], acc154 // copy acc to vreg[169]
v_accvgpr_read_b32 v[vgprValuC+162], acc170 // copy acc to vreg[170]
v_accvgpr_read_b32 v[vgprValuC+163], acc186 // copy acc to vreg[171]
v_accvgpr_read_b32 v[vgprValuC+168], acc139 // copy acc to vreg[172]
v_accvgpr_read_b32 v[vgprValuC+169], acc155 // copy acc to vreg[173]
v_accvgpr_read_b32 v[vgprValuC+170], acc171 // copy acc to vreg[174]
v_accvgpr_read_b32 v[vgprValuC+171], acc187 // copy acc to vreg[175]
v_accvgpr_read_b32 v[vgprValuC+176], acc140 // copy acc to vreg[176]
v_accvgpr_read_b32 v[vgprValuC+177], acc156 // copy acc to vreg[177]
v_accvgpr_read_b32 v[vgprValuC+178], acc172 // copy acc to vreg[178]
v_accvgpr_read_b32 v[vgprValuC+179], acc188 // copy acc to vreg[179]
v_accvgpr_read_b32 v[vgprValuC+188], acc141 // copy acc to vreg[180]
v_accvgpr_read_b32 v[vgprValuC+189], acc157 // copy acc to vreg[181]
v_accvgpr_read_b32 v[vgprValuC+190], acc173 // copy acc to vreg[182]
v_accvgpr_read_b32 v[vgprValuC+191], acc189 // copy acc to vreg[183]
v_accvgpr_read_b32 v[vgprValuC+196], acc142 // copy acc to vreg[184]
v_accvgpr_read_b32 v[vgprValuC+197], acc158 // copy acc to vreg[185]
v_accvgpr_read_b32 v[vgprValuC+198], acc174 // copy acc to vreg[186]
v_accvgpr_read_b32 v[vgprValuC+199], acc190 // copy acc to vreg[187]
v_accvgpr_read_b32 v[vgprValuC+204], acc143 // copy acc to vreg[188]
v_accvgpr_read_b32 v[vgprValuC+205], acc159 // copy acc to vreg[189]
v_accvgpr_read_b32 v[vgprValuC+206], acc175 // copy acc to vreg[190]
v_accvgpr_read_b32 v[vgprValuC+207], acc191 // copy acc to vreg[191]
v_accvgpr_read_b32 v[vgprValuC+212], acc192 // copy acc to vreg[192]
v_accvgpr_read_b32 v[vgprValuC+213], acc208 // copy acc to vreg[193]
v_accvgpr_read_b32 v[vgprValuC+214], acc224 // copy acc to vreg[194]
v_accvgpr_read_b32 v[vgprValuC+215], acc240 // copy acc to vreg[195]
v_accvgpr_read_b32 v[vgprValuC+224], acc193 // copy acc to vreg[196]
v_accvgpr_read_b32 v[vgprValuC+225], acc209 // copy acc to vreg[197]
v_accvgpr_read_b32 v[vgprValuC+226], acc225 // copy acc to vreg[198]
v_accvgpr_read_b32 v[vgprValuC+227], acc241 // copy acc to vreg[199]
v_accvgpr_read_b32 v[vgprValuC+232], acc194 // copy acc to vreg[200]
v_accvgpr_read_b32 v[vgprValuC+233], acc210 // copy acc to vreg[201]
v_accvgpr_read_b32 v[vgprValuC+234], acc226 // copy acc to vreg[202]
v_accvgpr_read_b32 v[vgprValuC+235], acc242 // copy acc to vreg[203]
v_accvgpr_read_b32 v[vgprValuC+240], acc195 // copy acc to vreg[204]
v_accvgpr_read_b32 v[vgprValuC+241], acc211 // copy acc to vreg[205]
v_accvgpr_read_b32 v[vgprValuC+242], acc227 // copy acc to vreg[206]
v_accvgpr_read_b32 v[vgprValuC+243], acc243 // copy acc to vreg[207]
s_nop 1                                            // 2 wait states required before reading vgpr

/* rC *= alpha batchElements=[(0, 2, 1, 8), (0, 2, 1, 12), (0, 3, 1, 0), (0, 3, 1, 4), (0, 3, 1, 8), (0, 3, 1, 12), (0, 0, 2, 0), (0, 0, 2, 4), (0, 0, 2, 8), (0, 0, 2, 12), (0, 1, 2, 0), (0, 1, 2, 4), (0, 1, 2, 8), (0, 1, 2, 12), (0, 2, 2, 0), (0, 2, 2, 4), (0, 2, 2, 8), (0, 2, 2, 12), (0, 3, 2, 0), (0, 3, 2, 4), (0, 3, 2, 8), (0, 3, 2, 12), (0, 0, 3, 0), (0, 0, 3, 4), (0, 0, 3, 8), (0, 0, 3, 12)] */
v_mul_lo_u32 v[vgprValuC+12], s[sgprAlpha], v[vgprValuC+12] // *= alpha
v_mul_lo_u32 v[vgprValuC+13], s[sgprAlpha], v[vgprValuC+13] // *= alpha
	;; [unrolled: 1-line block ×104, first 2 shown]
s_waitcnt vmcnt(0)                                 // wait C

/* apply mask, calc new C and issue writes */
v_mul_lo_u32 v8, s[sgprBeta], v8                   // C = C*beta
_v_add_u32 v[vgprValuC+12], v8, v[vgprValuC+12]    // finalSum = sum*alpha + C*beta
v_mul_lo_u32 v9, s[sgprBeta], v9                   // C = C*beta
_v_add_u32 v[vgprValuC+13], v9, v[vgprValuC+13]    // finalSum = sum*alpha + C*beta
v_mul_lo_u32 v10, s[sgprBeta], v10                 // C = C*beta
_v_add_u32 v[vgprValuC+14], v10, v[vgprValuC+14]   // finalSum = sum*alpha + C*beta
v_mul_lo_u32 v11, s[sgprBeta], v11                 // C = C*beta
_v_add_u32 v[vgprValuC+15], v11, v[vgprValuC+15]   // finalSum = sum*alpha + C*beta
_buffer_store_b128 v[12:15], v6, s[sgprSrdD:sgprSrdD+3], 0, offen, offset:0 // store D
v_mul_lo_u32 v16, s[sgprBeta], v16                 // C = C*beta
_v_add_u32 v[vgprValuC+20], v16, v[vgprValuC+20]   // finalSum = sum*alpha + C*beta
v_mul_lo_u32 v17, s[sgprBeta], v17                 // C = C*beta
_v_add_u32 v[vgprValuC+21], v17, v[vgprValuC+21]   // finalSum = sum*alpha + C*beta
v_mul_lo_u32 v18, s[sgprBeta], v18                 // C = C*beta
_v_add_u32 v[vgprValuC+22], v18, v[vgprValuC+22]   // finalSum = sum*alpha + C*beta
v_mul_lo_u32 v19, s[sgprBeta], v19                 // C = C*beta
_v_add_u32 v[vgprValuC+23], v19, v[vgprValuC+23]   // finalSum = sum*alpha + C*beta
_buffer_store_b128 v[20:23], v7, s[sgprSrdD:sgprSrdD+3], 0, offen, offset:0 // store D
v_mul_lo_u32 v28, s[sgprBeta], v28                 // C = C*beta
_v_add_u32 v[vgprValuC+32], v28, v[vgprValuC+32]   // finalSum = sum*alpha + C*beta
v_mul_lo_u32 v29, s[sgprBeta], v29                 // C = C*beta
_v_add_u32 v[vgprValuC+33], v29, v[vgprValuC+33]   // finalSum = sum*alpha + C*beta
	;; [unrolled: 9-line block ×9, first 2 shown]
v_mul_lo_u32 v94, s[sgprBeta], v94                 // C = C*beta
_v_add_u32 v[vgprValuC+98], v94, v[vgprValuC+98]   // finalSum = sum*alpha + C*beta
v_mul_lo_u32 v95, s[sgprBeta], v95                 // C = C*beta
_v_add_u32 v[vgprValuC+99], v95, v[vgprValuC+99]   // finalSum = sum*alpha + C*beta
_buffer_store_b128 v[96:99], v42, s[sgprSrdD:sgprSrdD+3], 0, offen, offset:0 // store D
v_mul_lo_u32 v100, s[sgprBeta], v100               // C = C*beta
_v_add_u32 v[vgprValuC+104], v100, v[vgprValuC+104] // finalSum = sum*alpha + C*beta
v_mul_lo_u32 v101, s[sgprBeta], v101               // C = C*beta
_v_add_u32 v[vgprValuC+105], v101, v[vgprValuC+105] // finalSum = sum*alpha + C*beta
v_mul_lo_u32 v102, s[sgprBeta], v102               // C = C*beta
_v_add_u32 v[vgprValuC+106], v102, v[vgprValuC+106] // finalSum = sum*alpha + C*beta
v_mul_lo_u32 v103, s[sgprBeta], v103               // C = C*beta
_v_add_u32 v[vgprValuC+107], v103, v[vgprValuC+107] // finalSum = sum*alpha + C*beta
_buffer_store_b128 v[104:107], v43, s[sgprSrdD:sgprSrdD+3], 0, offen, offset:0 // store D
v_mul_lo_u32 v112, s[sgprBeta], v112               // C = C*beta
_v_add_u32 v[vgprValuC+116], v112, v[vgprValuC+116] // finalSum = sum*alpha + C*beta
v_mul_lo_u32 v113, s[sgprBeta], v113               // C = C*beta
_v_add_u32 v[vgprValuC+117], v113, v[vgprValuC+117] // finalSum = sum*alpha + C*beta
v_mul_lo_u32 v114, s[sgprBeta], v114               // C = C*beta
_v_add_u32 v[vgprValuC+118], v114, v[vgprValuC+118] // finalSum = sum*alpha + C*beta
v_mul_lo_u32 v115, s[sgprBeta], v115               // C = C*beta
_v_add_u32 v[vgprValuC+119], v115, v[vgprValuC+119] // finalSum = sum*alpha + C*beta
	;; [unrolled: 9-line block ×16, first 2 shown]
_buffer_store_b128 v[240:243], v218, s[sgprSrdD:sgprSrdD+3], 0, offen, offset:0 // store D
s_nop 0                                            // 1 wait state required when next inst writes vgprs held by previous dwordx4 store inst
/* optSingleColVgpr=0 optSharedColVgpr=0 optSGPRUsage=BufferLoad_Edge_Mask optSrdIncForRow=0 */

/******************************************/
/* Global Write Alpha Beta Edge Batch #2 (d1,d0,vc1,vc0) = */
/*    (0,1,3,0:vw4); (0,1,3,4:vw4); (0,1,3,8:vw4); (0,1,3,12:vw4); (0,2,3,0:vw4); (0,2,3,4:vw4); (0,2,3,8:vw4); (0,2,3,12:vw4); (0,3,3,0:vw4); (0,3,3,4:vw4); (0,3,3,8:vw4); (0,3,3,12:vw4) */
/******************************************/

/* calc coords, apply mask, and issue loads (if necessary) */
/* (d1,vc1,d0,vc0)=(0,3,1,0) */
_v_add_co_u32 v4, vcc, v0, 32                      // coord0.1: coord0 += d0*sg0*VW + vc0
v_cmp_lt_u32 s[64:65], v4, s[sgprSizeI]            // coord0 < size0
v_cmp_lt_u32 s[68:69], v1, s[sgprSizeJ]            // coord1 < size1
s_and_b64 s[68:69], s[64:65], s[68:69]             // in0 && in1
_v_add_lshl_u32 v6, v2, v4, 0x2                    // scaleToBpe: accumulate d0 lower and *= bpe into Cin addr
v_cndmask_b32 v6, -1, v6, s[68:69]                 // LDC clip if OOB. offset
_buffer_load_b128 v[8:11], v6, s[sgprSrdC:sgprSrdC+3], 0, offen offset:0 // load C for beta calc
_v_add_lshl_u32 v6, v3, v4, 0x2                    // scaleToBpe: accumulate d0 lower and *= bpe into Cin addr
v_cndmask_b32 v6, -1, v6, s[68:69]                 // LDD clip if OOB. offset
/* (d1,vc1,d0,vc0)=(0,3,1,4) */
_v_add_co_u32 v4, vcc, v0, 36                      // coord0.1: coord0 += d0*sg0*VW + vc0
v_cmp_lt_u32 s[64:65], v4, s[sgprSizeI]            // coord0 < size0
v_cmp_lt_u32 s[68:69], v1, s[sgprSizeJ]            // coord1 < size1
s_and_b64 s[68:69], s[64:65], s[68:69]             // in0 && in1
_v_add_lshl_u32 v7, v2, v4, 0x2                    // scaleToBpe: accumulate d0 lower and *= bpe into Cin addr
v_cndmask_b32 v7, -1, v7, s[68:69]                 // LDC clip if OOB. offset
_buffer_load_b128 v[16:19], v7, s[sgprSrdC:sgprSrdC+3], 0, offen offset:0 // load C for beta calc
_v_add_lshl_u32 v7, v3, v4, 0x2                    // scaleToBpe: accumulate d0 lower and *= bpe into Cin addr
v_cndmask_b32 v7, -1, v7, s[68:69]                 // LDD clip if OOB. offset
/* (d1,vc1,d0,vc0)=(0,3,1,8) */
_v_add_co_u32 v4, vcc, v0, 40                      // coord0.1: coord0 += d0*sg0*VW + vc0
v_cmp_lt_u32 s[64:65], v4, s[sgprSizeI]            // coord0 < size0
v_cmp_lt_u32 s[68:69], v1, s[sgprSizeJ]            // coord1 < size1
s_and_b64 s[68:69], s[64:65], s[68:69]             // in0 && in1
_v_add_lshl_u32 v24, v2, v4, 0x2                   // scaleToBpe: accumulate d0 lower and *= bpe into Cin addr
v_cndmask_b32 v24, -1, v24, s[68:69]               // LDC clip if OOB. offset
_buffer_load_b128 v[28:31], v24, s[sgprSrdC:sgprSrdC+3], 0, offen offset:0 // load C for beta calc
_v_add_lshl_u32 v24, v3, v4, 0x2                   // scaleToBpe: accumulate d0 lower and *= bpe into Cin addr
v_cndmask_b32 v24, -1, v24, s[68:69]               // LDD clip if OOB. offset
/* (d1,vc1,d0,vc0)=(0,3,1,12) */
_v_add_co_u32 v4, vcc, v0, 44                      // coord0.1: coord0 += d0*sg0*VW + vc0
v_cmp_lt_u32 s[64:65], v4, s[sgprSizeI]            // coord0 < size0
v_cmp_lt_u32 s[68:69], v1, s[sgprSizeJ]            // coord1 < size1
s_and_b64 s[68:69], s[64:65], s[68:69]             // in0 && in1
_v_add_lshl_u32 v25, v2, v4, 0x2                   // scaleToBpe: accumulate d0 lower and *= bpe into Cin addr
v_cndmask_b32 v25, -1, v25, s[68:69]               // LDC clip if OOB. offset
_buffer_load_b128 v[44:47], v25, s[sgprSrdC:sgprSrdC+3], 0, offen offset:0 // load C for beta calc
_v_add_lshl_u32 v25, v3, v4, 0x2                   // scaleToBpe: accumulate d0 lower and *= bpe into Cin addr
v_cndmask_b32 v25, -1, v25, s[68:69]               // LDD clip if OOB. offset
	;; [unrolled: 10-line block ×3, first 2 shown]
/* (d1,vc1,d0,vc0)=(0,3,2,4) */
s_mov_b32 s64, 68                                  // coordOffset0 d0=2 vc0=4
_v_add_co_u32 v4, vcc, v0, s64                     // coord0.2: coord0 += d0*sg0*VW + vc0
v_cmp_lt_u32 s[64:65], v4, s[sgprSizeI]            // coord0 < size0
v_cmp_lt_u32 s[68:69], v1, s[sgprSizeJ]            // coord1 < size1
s_and_b64 s[68:69], s[64:65], s[68:69]             // in0 && in1
_v_add_lshl_u32 v27, v2, v4, 0x2                   // scaleToBpe: accumulate d0 lower and *= bpe into Cin addr
v_cndmask_b32 v27, -1, v27, s[68:69]               // LDC clip if OOB. offset
_buffer_load_b128 v[60:63], v27, s[sgprSrdC:sgprSrdC+3], 0, offen offset:0 // load C for beta calc
_v_add_lshl_u32 v27, v3, v4, 0x2                   // scaleToBpe: accumulate d0 lower and *= bpe into Cin addr
v_cndmask_b32 v27, -1, v27, s[68:69]               // LDD clip if OOB. offset
/* (d1,vc1,d0,vc0)=(0,3,2,8) */
s_mov_b32 s64, 72                                  // coordOffset0 d0=2 vc0=8
_v_add_co_u32 v4, vcc, v0, s64                     // coord0.2: coord0 += d0*sg0*VW + vc0
v_cmp_lt_u32 s[64:65], v4, s[sgprSizeI]            // coord0 < size0
v_cmp_lt_u32 s[68:69], v1, s[sgprSizeJ]            // coord1 < size1
s_and_b64 s[68:69], s[64:65], s[68:69]             // in0 && in1
_v_add_lshl_u32 v36, v2, v4, 0x2                   // scaleToBpe: accumulate d0 lower and *= bpe into Cin addr
v_cndmask_b32 v36, -1, v36, s[68:69]               // LDC clip if OOB. offset
_buffer_load_b128 v[68:71], v36, s[sgprSrdC:sgprSrdC+3], 0, offen offset:0 // load C for beta calc
_v_add_lshl_u32 v36, v3, v4, 0x2                   // scaleToBpe: accumulate d0 lower and *= bpe into Cin addr
v_cndmask_b32 v36, -1, v36, s[68:69]               // LDD clip if OOB. offset
	;; [unrolled: 11-line block ×4, first 2 shown]
/* (d1,vc1,d0,vc0)=(0,3,3,4) */
s_mov_b32 s64, 100                                 // coordOffset0 d0=3 vc0=4
_v_add_co_u32 v4, vcc, v0, s64                     // coord0.2: coord0 += d0*sg0*VW + vc0
v_cmp_lt_u32 s[64:65], v4, s[sgprSizeI]            // coord0 < size0
v_cmp_lt_u32 s[68:69], v1, s[sgprSizeJ]            // coord1 < size1
s_and_b64 s[68:69], s[64:65], s[68:69]             // in0 && in1
_v_add_lshl_u32 v42, v2, v4, 0x2                   // scaleToBpe: accumulate d0 lower and *= bpe into Cin addr
v_cndmask_b32 v42, -1, v42, s[68:69]               // LDC clip if OOB. offset
_buffer_load_b128 v[92:95], v42, s[sgprSrdC:sgprSrdC+3], 0, offen offset:0 // load C for beta calc
_v_add_lshl_u32 v42, v3, v4, 0x2                   // scaleToBpe: accumulate d0 lower and *= bpe into Cin addr
v_cndmask_b32 v42, -1, v42, s[68:69]               // LDD clip if OOB. offset
/* (d1,vc1,d0,vc0)=(0,3,3,8) */
s_mov_b32 s64, 104                                 // coordOffset0 d0=3 vc0=8
_v_add_co_u32 v4, vcc, v0, s64                     // coord0.2: coord0 += d0*sg0*VW + vc0
v_cmp_lt_u32 s[64:65], v4, s[sgprSizeI]            // coord0 < size0
v_cmp_lt_u32 s[68:69], v1, s[sgprSizeJ]            // coord1 < size1
s_and_b64 s[68:69], s[64:65], s[68:69]             // in0 && in1
_v_add_lshl_u32 v43, v2, v4, 0x2                   // scaleToBpe: accumulate d0 lower and *= bpe into Cin addr
v_cndmask_b32 v43, -1, v43, s[68:69]               // LDC clip if OOB. offset
_buffer_load_b128 v[100:103], v43, s[sgprSrdC:sgprSrdC+3], 0, offen offset:0 // load C for beta calc
_v_add_lshl_u32 v43, v3, v4, 0x2                   // scaleToBpe: accumulate d0 lower and *= bpe into Cin addr
v_cndmask_b32 v43, -1, v43, s[68:69]               // LDD clip if OOB. offset
/* (d1,vc1,d0,vc0)=(0,3,3,12) */
s_mov_b32 s64, 108                                 // coordOffset0 d0=3 vc0=12
_v_add_co_u32 v4, vcc, v0, s64                     // coord0.2: coord0 += d0*sg0*VW + vc0
v_cmp_lt_u32 s[64:65], v4, s[sgprSizeI]            // coord0 < size0
v_cmp_lt_u32 s[68:69], v1, s[sgprSizeJ]            // coord1 < size1
s_and_b64 s[68:69], s[64:65], s[68:69]             // in0 && in1
_v_add_lshl_u32 v108, v2, v4, 0x2                  // scaleToBpe: accumulate d0 lower and *= bpe into Cin addr
v_cndmask_b32 v108, -1, v108, s[68:69]             // LDC clip if OOB. offset
_buffer_load_b128 v[112:115], v108, s[sgprSrdC:sgprSrdC+3], 0, offen offset:0 // load C for beta calc
_v_add_lshl_u32 v108, v3, v4, 0x2                  // scaleToBpe: accumulate d0 lower and *= bpe into Cin addr
v_cndmask_b32 v108, -1, v108, s[68:69]             // LDD clip if OOB. offset
v_accvgpr_read_b32 v[vgprValuC+12], acc196 // copy acc to vreg[208]
v_accvgpr_read_b32 v[vgprValuC+13], acc212 // copy acc to vreg[209]
v_accvgpr_read_b32 v[vgprValuC+14], acc228 // copy acc to vreg[210]
v_accvgpr_read_b32 v[vgprValuC+15], acc244 // copy acc to vreg[211]
v_accvgpr_read_b32 v[vgprValuC+20], acc197 // copy acc to vreg[212]
v_accvgpr_read_b32 v[vgprValuC+21], acc213 // copy acc to vreg[213]
v_accvgpr_read_b32 v[vgprValuC+22], acc229 // copy acc to vreg[214]
v_accvgpr_read_b32 v[vgprValuC+23], acc245 // copy acc to vreg[215]
v_accvgpr_read_b32 v[vgprValuC+32], acc198 // copy acc to vreg[216]
v_accvgpr_read_b32 v[vgprValuC+33], acc214 // copy acc to vreg[217]
v_accvgpr_read_b32 v[vgprValuC+34], acc230 // copy acc to vreg[218]
v_accvgpr_read_b32 v[vgprValuC+35], acc246 // copy acc to vreg[219]
v_accvgpr_read_b32 v[vgprValuC+48], acc199 // copy acc to vreg[220]
v_accvgpr_read_b32 v[vgprValuC+49], acc215 // copy acc to vreg[221]
v_accvgpr_read_b32 v[vgprValuC+50], acc231 // copy acc to vreg[222]
v_accvgpr_read_b32 v[vgprValuC+51], acc247 // copy acc to vreg[223]
v_accvgpr_read_b32 v[vgprValuC+56], acc200 // copy acc to vreg[224]
v_accvgpr_read_b32 v[vgprValuC+57], acc216 // copy acc to vreg[225]
v_accvgpr_read_b32 v[vgprValuC+58], acc232 // copy acc to vreg[226]
v_accvgpr_read_b32 v[vgprValuC+59], acc248 // copy acc to vreg[227]
v_accvgpr_read_b32 v[vgprValuC+64], acc201 // copy acc to vreg[228]
v_accvgpr_read_b32 v[vgprValuC+65], acc217 // copy acc to vreg[229]
v_accvgpr_read_b32 v[vgprValuC+66], acc233 // copy acc to vreg[230]
v_accvgpr_read_b32 v[vgprValuC+67], acc249 // copy acc to vreg[231]
v_accvgpr_read_b32 v[vgprValuC+72], acc202 // copy acc to vreg[232]
v_accvgpr_read_b32 v[vgprValuC+73], acc218 // copy acc to vreg[233]
v_accvgpr_read_b32 v[vgprValuC+74], acc234 // copy acc to vreg[234]
v_accvgpr_read_b32 v[vgprValuC+75], acc250 // copy acc to vreg[235]
v_accvgpr_read_b32 v[vgprValuC+80], acc203 // copy acc to vreg[236]
v_accvgpr_read_b32 v[vgprValuC+81], acc219 // copy acc to vreg[237]
v_accvgpr_read_b32 v[vgprValuC+82], acc235 // copy acc to vreg[238]
v_accvgpr_read_b32 v[vgprValuC+83], acc251 // copy acc to vreg[239]
v_accvgpr_read_b32 v[vgprValuC+88], acc204 // copy acc to vreg[240]
v_accvgpr_read_b32 v[vgprValuC+89], acc220 // copy acc to vreg[241]
v_accvgpr_read_b32 v[vgprValuC+90], acc236 // copy acc to vreg[242]
v_accvgpr_read_b32 v[vgprValuC+91], acc252 // copy acc to vreg[243]
v_accvgpr_read_b32 v[vgprValuC+96], acc205 // copy acc to vreg[244]
v_accvgpr_read_b32 v[vgprValuC+97], acc221 // copy acc to vreg[245]
v_accvgpr_read_b32 v[vgprValuC+98], acc237 // copy acc to vreg[246]
v_accvgpr_read_b32 v[vgprValuC+99], acc253 // copy acc to vreg[247]
v_accvgpr_read_b32 v[vgprValuC+104], acc206 // copy acc to vreg[248]
v_accvgpr_read_b32 v[vgprValuC+105], acc222 // copy acc to vreg[249]
v_accvgpr_read_b32 v[vgprValuC+106], acc238 // copy acc to vreg[250]
v_accvgpr_read_b32 v[vgprValuC+107], acc254 // copy acc to vreg[251]
v_accvgpr_read_b32 v[vgprValuC+116], acc207 // copy acc to vreg[252]
v_accvgpr_read_b32 v[vgprValuC+117], acc223 // copy acc to vreg[253]
v_accvgpr_read_b32 v[vgprValuC+118], acc239 // copy acc to vreg[254]
v_accvgpr_read_b32 v[vgprValuC+119], acc255 // copy acc to vreg[255]
s_nop 1                                            // 2 wait states required before reading vgpr

/* rC *= alpha batchElements=[(0, 1, 3, 0), (0, 1, 3, 4), (0, 1, 3, 8), (0, 1, 3, 12), (0, 2, 3, 0), (0, 2, 3, 4), (0, 2, 3, 8), (0, 2, 3, 12), (0, 3, 3, 0), (0, 3, 3, 4), (0, 3, 3, 8), (0, 3, 3, 12)] */
v_mul_lo_u32 v[vgprValuC+12], s[sgprAlpha], v[vgprValuC+12] // *= alpha
v_mul_lo_u32 v[vgprValuC+13], s[sgprAlpha], v[vgprValuC+13] // *= alpha
	;; [unrolled: 1-line block ×48, first 2 shown]
s_waitcnt vmcnt(0)                                 // wait C

/* apply mask, calc new C and issue writes */
v_mul_lo_u32 v8, s[sgprBeta], v8                   // C = C*beta
_v_add_u32 v[vgprValuC+12], v8, v[vgprValuC+12]    // finalSum = sum*alpha + C*beta
v_mul_lo_u32 v9, s[sgprBeta], v9                   // C = C*beta
_v_add_u32 v[vgprValuC+13], v9, v[vgprValuC+13]    // finalSum = sum*alpha + C*beta
v_mul_lo_u32 v10, s[sgprBeta], v10                 // C = C*beta
_v_add_u32 v[vgprValuC+14], v10, v[vgprValuC+14]   // finalSum = sum*alpha + C*beta
v_mul_lo_u32 v11, s[sgprBeta], v11                 // C = C*beta
_v_add_u32 v[vgprValuC+15], v11, v[vgprValuC+15]   // finalSum = sum*alpha + C*beta
_buffer_store_b128 v[12:15], v6, s[sgprSrdD:sgprSrdD+3], 0, offen, offset:0 // store D
v_mul_lo_u32 v16, s[sgprBeta], v16                 // C = C*beta
_v_add_u32 v[vgprValuC+20], v16, v[vgprValuC+20]   // finalSum = sum*alpha + C*beta
v_mul_lo_u32 v17, s[sgprBeta], v17                 // C = C*beta
_v_add_u32 v[vgprValuC+21], v17, v[vgprValuC+21]   // finalSum = sum*alpha + C*beta
v_mul_lo_u32 v18, s[sgprBeta], v18                 // C = C*beta
_v_add_u32 v[vgprValuC+22], v18, v[vgprValuC+22]   // finalSum = sum*alpha + C*beta
v_mul_lo_u32 v19, s[sgprBeta], v19                 // C = C*beta
_v_add_u32 v[vgprValuC+23], v19, v[vgprValuC+23]   // finalSum = sum*alpha + C*beta
_buffer_store_b128 v[20:23], v7, s[sgprSrdD:sgprSrdD+3], 0, offen, offset:0 // store D
v_mul_lo_u32 v28, s[sgprBeta], v28                 // C = C*beta
_v_add_u32 v[vgprValuC+32], v28, v[vgprValuC+32]   // finalSum = sum*alpha + C*beta
v_mul_lo_u32 v29, s[sgprBeta], v29                 // C = C*beta
_v_add_u32 v[vgprValuC+33], v29, v[vgprValuC+33]   // finalSum = sum*alpha + C*beta
	;; [unrolled: 9-line block ×9, first 2 shown]
v_mul_lo_u32 v94, s[sgprBeta], v94                 // C = C*beta
_v_add_u32 v[vgprValuC+98], v94, v[vgprValuC+98]   // finalSum = sum*alpha + C*beta
v_mul_lo_u32 v95, s[sgprBeta], v95                 // C = C*beta
_v_add_u32 v[vgprValuC+99], v95, v[vgprValuC+99]   // finalSum = sum*alpha + C*beta
_buffer_store_b128 v[96:99], v42, s[sgprSrdD:sgprSrdD+3], 0, offen, offset:0 // store D
v_mul_lo_u32 v100, s[sgprBeta], v100               // C = C*beta
_v_add_u32 v[vgprValuC+104], v100, v[vgprValuC+104] // finalSum = sum*alpha + C*beta
v_mul_lo_u32 v101, s[sgprBeta], v101               // C = C*beta
_v_add_u32 v[vgprValuC+105], v101, v[vgprValuC+105] // finalSum = sum*alpha + C*beta
	;; [unrolled: 2-line block ×4, first 2 shown]
_buffer_store_b128 v[104:107], v43, s[sgprSrdD:sgprSrdD+3], 0, offen, offset:0 // store D
v_mul_lo_u32 v112, s[sgprBeta], v112               // C = C*beta
_v_add_u32 v[vgprValuC+116], v112, v[vgprValuC+116] // finalSum = sum*alpha + C*beta
v_mul_lo_u32 v113, s[sgprBeta], v113               // C = C*beta
_v_add_u32 v[vgprValuC+117], v113, v[vgprValuC+117] // finalSum = sum*alpha + C*beta
	;; [unrolled: 2-line block ×4, first 2 shown]
_buffer_store_b128 v[116:119], v108, s[sgprSrdD:sgprSrdD+3], 0, offen, offset:0 // store D
s_nop 0                                            // 1 wait state required when next inst writes vgprs held by previous dwordx4 store inst
s_branch label_GW_End_238                          // jump to end
label_GW_End_238:

s_mul_i32 s42, s[sgprNumWorkGroups0], s[sgprNumWorkGroups1] // Total WG-0x1
s_cmp_ge_u32 s[sgprSerialWorkGroupIter], s42       // outside legal WG?
s_cbranch_scc1 label_NoBranch_243                  // Only branch on scc0
s_getpc_B64 s[64:65]                               // addr of next instr
s_add_i32 s66, label_0012, 0x4                     // target branch offset
s_abs_i32 s66, s66                                 // abs offset
s_sub_u32 s64, s64, s66                            // sub target branch offset
s_subb_u32 s65, s65, 0                             // sub high and carry
s_setpc_b64 s[64:65]                               // branch to label_0012
label_NoBranch_243:
label_0244:  /// KernelEnd
s_endpgm                                           // Kernel End

